;; amdgpu-corpus repo=ROCm/rocFFT kind=compiled arch=gfx950 opt=O3
	.text
	.amdgcn_target "amdgcn-amd-amdhsa--gfx950"
	.amdhsa_code_object_version 6
	.protected	fft_rtc_fwd_len289_factors_17_17_wgs_119_tpt_17_dp_op_CI_CI_sbrc_erc_z_xy_unaligned_dirReg ; -- Begin function fft_rtc_fwd_len289_factors_17_17_wgs_119_tpt_17_dp_op_CI_CI_sbrc_erc_z_xy_unaligned_dirReg
	.globl	fft_rtc_fwd_len289_factors_17_17_wgs_119_tpt_17_dp_op_CI_CI_sbrc_erc_z_xy_unaligned_dirReg
	.p2align	8
	.type	fft_rtc_fwd_len289_factors_17_17_wgs_119_tpt_17_dp_op_CI_CI_sbrc_erc_z_xy_unaligned_dirReg,@function
fft_rtc_fwd_len289_factors_17_17_wgs_119_tpt_17_dp_op_CI_CI_sbrc_erc_z_xy_unaligned_dirReg: ; @fft_rtc_fwd_len289_factors_17_17_wgs_119_tpt_17_dp_op_CI_CI_sbrc_erc_z_xy_unaligned_dirReg
; %bb.0:
	s_load_dwordx8 s[4:11], s[0:1], 0x0
	s_waitcnt lgkmcnt(0)
	s_load_dwordx4 s[12:15], s[8:9], 0x8
	s_waitcnt lgkmcnt(0)
	s_add_i32 s3, s12, -1
	s_mul_hi_u32 s8, s3, 0x24924925
	s_sub_i32 s3, s3, s8
	s_lshr_b32 s3, s3, 1
	s_add_i32 s3, s3, s8
	s_lshr_b32 s3, s3, 2
	s_add_i32 s8, s3, 1
	s_mul_i32 s9, s8, s14
	v_cvt_f32_u32_e32 v2, s9
	v_cvt_f32_u32_e32 v1, s8
	s_load_dwordx2 s[14:15], s[0:1], 0x20
	s_load_dwordx4 s[16:19], s[10:11], 0x0
	s_waitcnt lgkmcnt(0)
	s_sub_i32 s19, 0, s9
	v_rcp_iflag_f32_e32 v2, v2
	v_rcp_iflag_f32_e32 v1, v1
	s_load_dword s13, s[10:11], 0x10
	v_mul_f32_e32 v2, 0x4f7ffffe, v2
	v_cvt_u32_f32_e32 v2, v2
	v_mul_f32_e32 v1, 0x4f7ffffe, v1
	v_cvt_u32_f32_e32 v1, v1
	v_readfirstlane_b32 s21, v2
	s_mul_i32 s19, s19, s21
	s_mul_hi_u32 s19, s21, s19
	s_add_i32 s21, s21, s19
	s_mul_hi_u32 s19, s2, s21
	s_mul_i32 s21, s19, s9
	s_sub_i32 s21, s2, s21
	s_add_i32 s22, s19, 1
	s_sub_i32 s23, s21, s9
	s_cmp_ge_u32 s21, s9
	s_cselect_b32 s19, s22, s19
	s_cselect_b32 s21, s23, s21
	s_add_i32 s22, s19, 1
	s_cmp_ge_u32 s21, s9
	v_readfirstlane_b32 s20, v1
	s_cselect_b32 s33, s22, s19
	s_not_b32 s3, s3
	s_mul_i32 s3, s3, s20
	s_mul_i32 s9, s33, s9
	s_mul_hi_u32 s3, s20, s3
	s_sub_i32 s9, s2, s9
	s_add_i32 s20, s20, s3
	s_mul_hi_u32 s3, s9, s20
	s_mul_i32 s19, s3, s8
	s_sub_i32 s9, s9, s19
	s_add_i32 s21, s3, 1
	s_sub_i32 s19, s9, s8
	s_cmp_ge_u32 s9, s8
	s_cselect_b32 s3, s21, s3
	s_cselect_b32 s9, s19, s9
	s_add_i32 s19, s3, 1
	s_cmp_ge_u32 s9, s8
	s_cselect_b32 s66, s19, s3
	s_mul_hi_u32 s3, s2, s20
	s_mul_i32 s3, s3, s8
	s_sub_i32 s2, s2, s3
	s_sub_i32 s3, s2, s8
	s_cmp_ge_u32 s2, s8
	s_cselect_b32 s2, s3, s2
	s_sub_i32 s3, s2, s8
	s_cmp_ge_u32 s2, s8
	s_cselect_b32 s2, s3, s2
	s_waitcnt lgkmcnt(0)
	s_mul_i32 s3, s66, s13
	s_mul_i32 s13, s2, 7
	;; [unrolled: 1-line block ×3, first 2 shown]
	s_add_i32 s19, s2, s3
	s_lshl_b64 s[6:7], s[6:7], 3
	s_add_u32 s22, s10, s6
	s_addc_u32 s23, s11, s7
	s_load_dwordx2 s[24:25], s[22:23], 0x0
	s_load_dwordx2 s[20:21], s[0:1], 0x58
	s_load_dwordx4 s[8:11], s[14:15], 0x0
	s_load_dwordx2 s[2:3], s[14:15], 0x10
	s_waitcnt lgkmcnt(0)
	s_mul_i32 s3, s25, s33
	s_mul_hi_u32 s11, s24, s33
	s_add_i32 s11, s11, s3
	s_mul_i32 s3, s24, s33
	s_add_u32 s22, s3, s19
	s_addc_u32 s23, s11, 0
	s_add_u32 s6, s14, s6
	s_addc_u32 s7, s15, s7
	s_load_dwordx2 s[14:15], s[6:7], 0x0
	s_add_i32 s3, s13, 7
	s_cmp_le_u32 s3, s12
	s_cselect_b64 s[6:7], -1, 0
	s_mov_b64 s[24:25], -1
	s_and_b64 vcc, exec, s[6:7]
	s_cbranch_vccz .LBB0_2
; %bb.1:
	v_and_b32_e32 v1, 0xffff, v0
	v_mad_u64_u32 v[2:3], s[24:25], s16, v1, 0
	v_mov_b32_e32 v4, v3
	v_mad_u64_u32 v[4:5], s[24:25], s17, v1, v[4:5]
	s_lshl_b64 s[24:25], s[22:23], 4
	s_add_u32 s24, s20, s24
	v_mov_b32_e32 v3, v4
	s_addc_u32 s25, s21, s25
	v_add_u16_e32 v72, 0x77, v0
	v_lshl_add_u64 v[10:11], v[2:3], 4, s[24:25]
	v_mad_u64_u32 v[2:3], s[26:27], s16, v72, 0
	v_mov_b32_e32 v4, v3
	v_mad_u64_u32 v[4:5], s[26:27], s17, v72, v[4:5]
	v_mov_b32_e32 v3, v4
	v_lshl_add_u64 v[12:13], v[2:3], 4, s[24:25]
	global_load_dwordx4 v[6:9], v[10:11], off
	global_load_dwordx4 v[2:5], v[12:13], off
	v_add_u16_e32 v10, 0xee, v0
	v_mul_u32_u24_e32 v11, 0xe3, v10
	v_lshrrev_b32_e32 v73, 16, v11
	v_mul_lo_u16_e32 v11, 0x121, v73
	v_sub_u16_e32 v74, v10, v11
	v_mad_u64_u32 v[10:11], s[26:27], s16, v74, 0
	v_mov_b32_e32 v12, v11
	v_mad_u64_u32 v[12:13], s[26:27], s17, v74, v[12:13]
	v_mov_b32_e32 v11, v12
	v_mul_lo_u32 v26, s18, v73
	v_mov_b32_e32 v27, 0
	v_lshl_add_u64 v[10:11], v[10:11], 4, s[24:25]
	v_lshl_add_u64 v[18:19], v[26:27], 4, v[10:11]
	v_add_u16_e32 v10, 0x165, v0
	v_mul_u32_u24_e32 v11, 0xe3, v10
	v_lshrrev_b32_e32 v75, 16, v11
	v_mul_lo_u16_e32 v11, 0x121, v75
	v_sub_u16_e32 v76, v10, v11
	v_mad_u64_u32 v[10:11], s[26:27], s16, v76, 0
	v_mov_b32_e32 v12, v11
	v_mad_u64_u32 v[12:13], s[26:27], s17, v76, v[12:13]
	v_mov_b32_e32 v11, v12
	v_mul_lo_u32 v26, s18, v75
	v_lshl_add_u64 v[10:11], v[10:11], 4, s[24:25]
	v_lshl_add_u64 v[20:21], v[26:27], 4, v[10:11]
	global_load_dwordx4 v[14:17], v[18:19], off
	global_load_dwordx4 v[10:13], v[20:21], off
	v_add_u16_e32 v18, 0x1dc, v0
	v_mul_u32_u24_e32 v19, 0xe3, v18
	v_lshrrev_b32_e32 v77, 16, v19
	v_mul_lo_u16_e32 v19, 0x121, v77
	v_sub_u16_e32 v78, v18, v19
	v_mad_u64_u32 v[18:19], s[26:27], s16, v78, 0
	v_mov_b32_e32 v20, v19
	v_mad_u64_u32 v[20:21], s[26:27], s17, v78, v[20:21]
	v_mov_b32_e32 v19, v20
	v_mul_lo_u32 v26, s18, v77
	v_lshl_add_u64 v[18:19], v[18:19], 4, s[24:25]
	v_lshl_add_u64 v[28:29], v[26:27], 4, v[18:19]
	v_add_u16_e32 v18, 0x253, v0
	v_mul_u32_u24_e32 v19, 0xe3, v18
	v_lshrrev_b32_e32 v79, 16, v19
	v_mul_lo_u16_e32 v19, 0x121, v79
	v_sub_u16_e32 v80, v18, v19
	v_mad_u64_u32 v[18:19], s[26:27], s16, v80, 0
	v_mov_b32_e32 v20, v19
	v_mad_u64_u32 v[20:21], s[26:27], s17, v80, v[20:21]
	v_mov_b32_e32 v19, v20
	v_mul_lo_u32 v26, s18, v79
	v_lshl_add_u64 v[18:19], v[18:19], 4, s[24:25]
	v_lshl_add_u64 v[30:31], v[26:27], 4, v[18:19]
	v_add_u16_e32 v26, 0x2ca, v0
	global_load_dwordx4 v[22:25], v[28:29], off
	global_load_dwordx4 v[18:21], v[30:31], off
	v_mul_u32_u24_e32 v28, 0xe3, v26
	v_lshrrev_b32_e32 v81, 16, v28
	v_mul_lo_u16_e32 v28, 0x121, v81
	v_sub_u16_e32 v82, v26, v28
	v_mad_u64_u32 v[28:29], s[26:27], s16, v82, 0
	v_mov_b32_e32 v26, v29
	v_mad_u64_u32 v[30:31], s[26:27], s17, v82, v[26:27]
	v_mov_b32_e32 v29, v30
	v_mul_lo_u32 v26, s18, v81
	v_lshl_add_u64 v[28:29], v[28:29], 4, s[24:25]
	v_lshl_add_u64 v[36:37], v[26:27], 4, v[28:29]
	v_add_u16_e32 v26, 0x341, v0
	v_mul_u32_u24_e32 v28, 0xe3, v26
	v_lshrrev_b32_e32 v83, 16, v28
	v_mul_lo_u16_e32 v28, 0x121, v83
	v_sub_u16_e32 v84, v26, v28
	v_mad_u64_u32 v[28:29], s[26:27], s16, v84, 0
	v_mov_b32_e32 v26, v29
	v_mad_u64_u32 v[30:31], s[26:27], s17, v84, v[26:27]
	v_mov_b32_e32 v29, v30
	v_mul_lo_u32 v26, s18, v83
	v_lshl_add_u64 v[28:29], v[28:29], 4, s[24:25]
	v_lshl_add_u64 v[38:39], v[26:27], 4, v[28:29]
	v_add_u16_e32 v26, 0x3b8, v0
	global_load_dwordx4 v[28:31], v[36:37], off
	global_load_dwordx4 v[32:35], v[38:39], off
	;; [unrolled: 26-line block ×5, first 2 shown]
	v_mul_u32_u24_e32 v60, 0x717, v26
	v_lshrrev_b32_e32 v97, 19, v60
	v_mul_lo_u16_e32 v60, 0x121, v97
	v_sub_u16_e32 v98, v26, v60
	v_mad_u64_u32 v[60:61], s[26:27], s16, v98, 0
	v_mov_b32_e32 v26, v61
	v_mad_u64_u32 v[62:63], s[26:27], s17, v98, v[26:27]
	v_mov_b32_e32 v61, v62
	v_mul_lo_u32 v26, s18, v97
	v_lshl_add_u64 v[60:61], v[60:61], 4, s[24:25]
	v_lshl_add_u64 v[60:61], v[26:27], 4, v[60:61]
	v_add_u16_e32 v26, 0x6f9, v0
	v_mul_u32_u24_e32 v62, 0x717, v26
	v_lshrrev_b32_e32 v99, 19, v62
	v_mul_lo_u16_e32 v62, 0x121, v99
	v_sub_u16_e32 v100, v26, v62
	v_mad_u64_u32 v[62:63], s[26:27], s16, v100, 0
	v_mov_b32_e32 v26, v63
	v_mad_u64_u32 v[64:65], s[26:27], s17, v100, v[26:27]
	v_mov_b32_e32 v63, v64
	v_mul_lo_u32 v26, s18, v99
	v_lshl_add_u64 v[62:63], v[62:63], 4, s[24:25]
	v_lshl_add_u64 v[64:65], v[26:27], 4, v[62:63]
	v_add_u16_e32 v26, 0x770, v0
	v_mul_u32_u24_e32 v62, 0x717, v26
	v_lshrrev_b32_e32 v101, 19, v62
	v_mul_lo_u16_e32 v62, 0x121, v101
	v_sub_u16_e32 v102, v26, v62
	v_mad_u64_u32 v[68:69], s[26:27], s16, v102, 0
	v_mov_b32_e32 v26, v69
	global_load_dwordx4 v[60:63], v[60:61], off
	v_mad_u64_u32 v[66:67], s[26:27], s17, v102, v[26:27]
	v_mov_b32_e32 v69, v66
	global_load_dwordx4 v[64:67], v[64:65], off
	v_mul_lo_u32 v26, s18, v101
	v_lshl_add_u64 v[68:69], v[68:69], 4, s[24:25]
	v_lshl_add_u64 v[26:27], v[26:27], 4, v[68:69]
	global_load_dwordx4 v[68:71], v[26:27], off
	v_lshl_add_u32 v1, v1, 4, 0
	s_waitcnt vmcnt(16)
	ds_write_b128 v1, v[6:9]
	v_lshl_add_u32 v1, v72, 4, 0
	s_waitcnt vmcnt(15)
	ds_write_b128 v1, v[2:5]
	v_mul_u32_u24_e32 v1, 0x1220, v73
	v_lshlrev_b32_e32 v2, 4, v74
	v_add3_u32 v1, 0, v1, v2
	s_waitcnt vmcnt(14)
	ds_write_b128 v1, v[14:17]
	v_mul_u32_u24_e32 v1, 0x1220, v75
	v_lshlrev_b32_e32 v2, 4, v76
	v_add3_u32 v1, 0, v1, v2
	s_waitcnt vmcnt(13)
	ds_write_b128 v1, v[10:13]
	v_mul_u32_u24_e32 v1, 0x1220, v77
	v_lshlrev_b32_e32 v2, 4, v78
	v_add3_u32 v1, 0, v1, v2
	s_waitcnt vmcnt(12)
	ds_write_b128 v1, v[22:25]
	v_mul_u32_u24_e32 v1, 0x1220, v79
	v_lshlrev_b32_e32 v2, 4, v80
	v_add3_u32 v1, 0, v1, v2
	s_waitcnt vmcnt(11)
	ds_write_b128 v1, v[18:21]
	v_mul_u32_u24_e32 v1, 0x1220, v81
	v_lshlrev_b32_e32 v2, 4, v82
	v_add3_u32 v1, 0, v1, v2
	s_waitcnt vmcnt(10)
	ds_write_b128 v1, v[28:31]
	v_mul_u32_u24_e32 v1, 0x1220, v83
	v_lshlrev_b32_e32 v2, 4, v84
	v_add3_u32 v1, 0, v1, v2
	s_waitcnt vmcnt(9)
	ds_write_b128 v1, v[32:35]
	v_mul_u32_u24_e32 v1, 0x1220, v85
	v_lshlrev_b32_e32 v2, 4, v86
	v_add3_u32 v1, 0, v1, v2
	s_waitcnt vmcnt(8)
	ds_write_b128 v1, v[36:39]
	v_mul_u32_u24_e32 v1, 0x1220, v87
	v_lshlrev_b32_e32 v2, 4, v88
	v_add3_u32 v1, 0, v1, v2
	s_waitcnt vmcnt(7)
	ds_write_b128 v1, v[40:43]
	v_mul_u32_u24_e32 v1, 0x1220, v89
	v_lshlrev_b32_e32 v2, 4, v90
	v_add3_u32 v1, 0, v1, v2
	s_waitcnt vmcnt(6)
	ds_write_b128 v1, v[44:47]
	v_mul_u32_u24_e32 v1, 0x1220, v91
	v_lshlrev_b32_e32 v2, 4, v92
	v_add3_u32 v1, 0, v1, v2
	s_waitcnt vmcnt(5)
	ds_write_b128 v1, v[48:51]
	v_mul_u32_u24_e32 v1, 0x1220, v93
	v_lshlrev_b32_e32 v2, 4, v94
	v_add3_u32 v1, 0, v1, v2
	s_waitcnt vmcnt(4)
	ds_write_b128 v1, v[52:55]
	v_mul_u32_u24_e32 v1, 0x1220, v95
	v_lshlrev_b32_e32 v2, 4, v96
	v_add3_u32 v1, 0, v1, v2
	s_waitcnt vmcnt(3)
	ds_write_b128 v1, v[56:59]
	v_mul_u32_u24_e32 v1, 0x1220, v97
	v_lshlrev_b32_e32 v2, 4, v98
	v_add3_u32 v1, 0, v1, v2
	v_lshlrev_b32_e32 v2, 4, v100
	s_mov_b64 s[24:25], 0
	s_waitcnt vmcnt(2)
	ds_write_b128 v1, v[60:63]
	v_mul_u32_u24_e32 v1, 0x1220, v99
	v_add3_u32 v1, 0, v1, v2
	v_lshlrev_b32_e32 v2, 4, v102
	s_waitcnt vmcnt(1)
	ds_write_b128 v1, v[64:67]
	v_mul_u32_u24_e32 v1, 0x1220, v101
	v_add3_u32 v1, 0, v1, v2
	s_waitcnt vmcnt(0)
	ds_write_b128 v1, v[68:71]
.LBB0_2:
	s_load_dwordx2 s[0:1], s[0:1], 0x60
	s_andn2_b64 vcc, exec, s[24:25]
	s_cbranch_vccnz .LBB0_6
; %bb.3:
	s_lshl_b64 s[22:23], s[22:23], 4
	s_add_u32 s20, s20, s22
	s_addc_u32 s21, s21, s23
	s_mov_b64 s[22:23], 0
	s_mov_b32 s3, 0xe2c5
	v_mov_b32_e32 v3, 0
	s_movk_i32 s11, 0x7e6
	v_mov_b32_e32 v1, v0
.LBB0_4:                                ; =>This Inner Loop Header: Depth=1
	v_mul_u32_u24_sdwa v2, v1, s3 dst_sel:DWORD dst_unused:UNUSED_PAD src0_sel:WORD_0 src1_sel:DWORD
	v_lshrrev_b32_e32 v8, 24, v2
	v_mul_lo_u16_e32 v4, 0x121, v8
	v_sub_u16_e32 v9, v1, v4
	v_mad_u64_u32 v[4:5], s[24:25], s16, v9, 0
	v_mov_b32_e32 v6, v5
	v_mad_u64_u32 v[6:7], s[24:25], s17, v9, v[6:7]
	v_mov_b32_e32 v5, v6
	v_mul_lo_u32 v2, v8, s18
	v_lshl_add_u64 v[4:5], v[4:5], 4, s[20:21]
	v_lshl_add_u64 v[4:5], v[2:3], 4, v[4:5]
	global_load_dwordx4 v[4:7], v[4:5], off
	v_add_u32_e32 v1, 0x77, v1
	v_mul_u32_u24_e32 v2, 0x1220, v8
	v_lshlrev_b32_e32 v8, 4, v9
	v_cmp_lt_u32_e32 vcc, s11, v1
	v_add3_u32 v2, 0, v2, v8
	s_or_b64 s[22:23], vcc, s[22:23]
	s_waitcnt vmcnt(0)
	ds_write_b128 v2, v[4:7]
	s_andn2_b64 exec, exec, s[22:23]
	s_cbranch_execnz .LBB0_4
; %bb.5:
	s_or_b64 exec, exec, s[22:23]
.LBB0_6:
	s_movk_i32 s3, 0xf10
	v_mul_u32_u24_sdwa v1, v0, s3 dst_sel:DWORD dst_unused:UNUSED_PAD src0_sel:WORD_0 src1_sel:DWORD
	v_add_u32_sdwa v1, s13, v1 dst_sel:DWORD dst_unused:UNUSED_PAD src0_sel:DWORD src1_sel:WORD_1
	s_mov_b32 s3, 0x24924925
	v_mul_hi_u32 v2, v1, s3
	v_sub_u32_e32 v3, v1, v2
	v_lshrrev_b32_e32 v3, 1, v3
	v_add_u32_e32 v2, v3, v2
	v_lshrrev_b32_e32 v2, 2, v2
	v_mul_lo_u32 v2, v2, 7
	s_mov_b32 s11, 0xf0f0f10
	v_sub_u32_e32 v1, v1, v2
	v_mul_hi_u32 v2, v0, s11
	v_mul_u32_u24_e32 v1, 0x122, v1
	v_mul_u32_u24_e32 v2, 17, v2
	v_sub_u32_e32 v127, v0, v2
	v_lshlrev_b32_e32 v1, 4, v1
	v_add_u32_e32 v128, 0, v1
	v_lshlrev_b32_e32 v2, 4, v127
	v_add_u32_e32 v126, v128, v2
	s_waitcnt lgkmcnt(0)
	s_barrier
	v_add3_u32 v1, 0, v2, v1
	ds_read_b128 v[6:9], v126
	ds_read_b128 v[62:65], v1 offset:272
	ds_read_b128 v[54:57], v1 offset:544
	;; [unrolled: 1-line block ×11, first 2 shown]
	s_waitcnt lgkmcnt(10)
	v_add_f64 v[4:5], v[8:9], v[64:65]
	v_add_f64 v[2:3], v[6:7], v[62:63]
	s_waitcnt lgkmcnt(9)
	v_add_f64 v[4:5], v[4:5], v[56:57]
	v_add_f64 v[2:3], v[2:3], v[54:55]
	;; [unrolled: 3-line block ×6, first 2 shown]
	s_waitcnt lgkmcnt(4)
	v_add_f64 v[4:5], v[4:5], v[20:21]
	ds_read_b128 v[42:45], v1 offset:3264
	ds_read_b128 v[50:53], v1 offset:3536
	v_add_f64 v[2:3], v[2:3], v[18:19]
	s_waitcnt lgkmcnt(5)
	v_add_f64 v[4:5], v[4:5], v[12:13]
	v_add_f64 v[2:3], v[2:3], v[10:11]
	s_waitcnt lgkmcnt(4)
	v_add_f64 v[4:5], v[4:5], v[16:17]
	ds_read_b128 v[58:61], v1 offset:3808
	ds_read_b128 v[66:69], v1 offset:4080
	;; [unrolled: 1-line block ×3, first 2 shown]
	v_add_f64 v[2:3], v[2:3], v[14:15]
	s_waitcnt lgkmcnt(6)
	v_add_f64 v[4:5], v[4:5], v[24:25]
	v_add_f64 v[2:3], v[2:3], v[22:23]
	s_waitcnt lgkmcnt(5)
	v_add_f64 v[4:5], v[4:5], v[32:33]
	;; [unrolled: 3-line block ×4, first 2 shown]
	s_mov_b32 s40, 0x5d8e7cdc
	s_mov_b32 s46, 0x2a9d6da3
	;; [unrolled: 1-line block ×8, first 2 shown]
	v_add_f64 v[2:3], v[2:3], v[50:51]
	s_waitcnt lgkmcnt(2)
	v_add_f64 v[4:5], v[4:5], v[60:61]
	s_waitcnt lgkmcnt(0)
	v_add_f64 v[100:101], v[64:65], -v[72:73]
	s_mov_b32 s41, 0xbfd71e95
	s_mov_b32 s22, 0x370991
	;; [unrolled: 1-line block ×16, first 2 shown]
	v_add_f64 v[2:3], v[2:3], v[58:59]
	v_add_f64 v[4:5], v[4:5], v[68:69]
	;; [unrolled: 1-line block ×3, first 2 shown]
	v_add_f64 v[92:93], v[62:63], -v[70:71]
	v_add_f64 v[80:81], v[26:27], v[30:31]
	v_add_f64 v[82:83], v[26:27], -v[30:31]
	v_add_f64 v[88:89], v[18:19], v[22:23]
	;; [unrolled: 2-line block ×3, first 2 shown]
	v_add_f64 v[106:107], v[10:11], -v[14:15]
	s_mov_b32 s23, 0x3fedd6d0
	v_mul_f64 v[10:11], v[100:101], s[40:41]
	s_mov_b32 s21, 0x3fe7a5f6
	v_mul_f64 v[14:15], v[100:101], s[46:47]
	;; [unrolled: 2-line block ×7, first 2 shown]
	v_mul_f64 v[132:133], v[100:101], s[44:45]
	s_mov_b32 s39, 0xbfef7484
	v_add_f64 v[2:3], v[2:3], v[66:67]
	v_add_f64 v[4:5], v[4:5], v[72:73]
	;; [unrolled: 1-line block ×4, first 2 shown]
	v_add_f64 v[54:55], v[54:55], -v[66:67]
	v_add_f64 v[66:67], v[48:49], v[60:61]
	v_add_f64 v[48:49], v[48:49], -v[60:61]
	v_add_f64 v[60:61], v[38:39], v[50:51]
	;; [unrolled: 2-line block ×6, first 2 shown]
	v_add_f64 v[108:109], v[12:13], -v[16:17]
	v_fma_f64 v[12:13], v[94:95], s[22:23], -v[10:11]
	v_fmac_f64_e32 v[10:11], s[22:23], v[94:95]
	v_fma_f64 v[16:17], v[94:95], s[20:21], -v[14:15]
	v_fmac_f64_e32 v[14:15], s[20:21], v[94:95]
	;; [unrolled: 2-line block ×8, first 2 shown]
	v_mul_f64 v[30:31], v[92:93], s[40:41]
	v_mul_f64 v[34:35], v[92:93], s[46:47]
	;; [unrolled: 1-line block ×6, first 2 shown]
	v_add_f64 v[2:3], v[2:3], v[70:71]
	v_add_f64 v[62:63], v[56:57], v[68:69]
	v_add_f64 v[56:57], v[56:57], -v[68:69]
	v_add_f64 v[68:69], v[46:47], v[58:59]
	v_add_f64 v[46:47], v[46:47], -v[58:59]
	;; [unrolled: 2-line block ×4, first 2 shown]
	v_fma_f64 v[32:33], s[22:23], v[90:91], v[30:31]
	v_fma_f64 v[30:31], v[90:91], s[22:23], -v[30:31]
	v_fma_f64 v[36:37], s[20:21], v[90:91], v[34:35]
	v_fma_f64 v[34:35], v[90:91], s[20:21], -v[34:35]
	v_fma_f64 v[40:41], s[18:19], v[90:91], v[38:39]
	v_fma_f64 v[44:45], s[16:17], v[90:91], v[42:43]
	v_fma_f64 v[42:43], v[90:91], s[16:17], -v[42:43]
	v_fma_f64 v[116:117], s[24:25], v[90:91], v[94:95]
	v_fma_f64 v[120:121], s[26:27], v[90:91], v[118:119]
	v_mul_f64 v[122:123], v[92:93], s[36:37]
	v_mul_f64 v[92:93], v[92:93], s[44:45]
	v_fma_f64 v[38:39], v[90:91], s[18:19], -v[38:39]
	v_fma_f64 v[94:95], v[90:91], s[24:25], -v[94:95]
	;; [unrolled: 1-line block ×3, first 2 shown]
	v_fma_f64 v[134:135], s[28:29], v[90:91], v[122:123]
	v_fma_f64 v[136:137], v[90:91], s[28:29], -v[122:123]
	v_fma_f64 v[138:139], s[38:39], v[90:91], v[92:93]
	v_fma_f64 v[90:91], v[90:91], s[38:39], -v[92:93]
	v_add_f64 v[12:13], v[6:7], v[12:13]
	v_add_f64 v[140:141], v[8:9], v[32:33]
	v_add_f64 v[142:143], v[6:7], v[10:11]
	v_add_f64 v[144:145], v[8:9], v[30:31]
	v_add_f64 v[16:17], v[6:7], v[16:17]
	v_add_f64 v[146:147], v[8:9], v[36:37]
	v_add_f64 v[14:15], v[6:7], v[14:15]
	v_add_f64 v[148:149], v[8:9], v[34:35]
	v_add_f64 v[150:151], v[6:7], v[20:21]
	v_add_f64 v[152:153], v[8:9], v[40:41]
	v_add_f64 v[154:155], v[6:7], v[18:19]
	v_add_f64 v[36:37], v[6:7], v[24:25]
	v_add_f64 v[34:35], v[8:9], v[44:45]
	v_add_f64 v[32:33], v[6:7], v[22:23]
	v_add_f64 v[30:31], v[8:9], v[42:43]
	v_add_f64 v[44:45], v[6:7], v[28:29]
	v_add_f64 v[42:43], v[8:9], v[116:117]
	v_add_f64 v[40:41], v[6:7], v[26:27]
	v_add_f64 v[124:125], v[6:7], v[112:113]
	v_add_f64 v[122:123], v[8:9], v[120:121]
	v_add_f64 v[120:121], v[6:7], v[110:111]
	v_add_f64 v[116:117], v[6:7], v[114:115]
	v_add_f64 v[112:113], v[6:7], v[130:131]
	v_add_f64 v[100:101], v[6:7], v[100:101]
	v_add_f64 v[92:93], v[6:7], v[132:133]
	v_mul_f64 v[6:7], v[56:57], s[46:47]
	v_add_f64 v[156:157], v[8:9], v[38:39]
	v_add_f64 v[38:39], v[8:9], v[94:95]
	v_add_f64 v[118:119], v[8:9], v[118:119]
	v_add_f64 v[114:115], v[8:9], v[134:135]
	v_add_f64 v[110:111], v[8:9], v[136:137]
	v_add_f64 v[94:95], v[8:9], v[138:139]
	v_add_f64 v[90:91], v[8:9], v[90:91]
	v_fma_f64 v[8:9], v[64:65], s[20:21], -v[6:7]
	v_mul_f64 v[18:19], v[54:55], s[46:47]
	v_mul_f64 v[20:21], v[48:49], s[52:53]
	v_add_f64 v[8:9], v[8:9], v[12:13]
	v_fma_f64 v[10:11], s[20:21], v[62:63], v[18:19]
	v_fma_f64 v[12:13], v[68:69], s[18:19], -v[20:21]
	v_mul_f64 v[22:23], v[46:47], s[52:53]
	v_add_f64 v[10:11], v[10:11], v[140:141]
	v_add_f64 v[8:9], v[12:13], v[8:9]
	v_fma_f64 v[12:13], s[18:19], v[66:67], v[22:23]
	v_mul_f64 v[24:25], v[52:53], s[42:43]
	v_add_f64 v[10:11], v[12:13], v[10:11]
	v_fma_f64 v[12:13], v[60:61], s[16:17], -v[24:25]
	v_mul_f64 v[26:27], v[50:51], s[42:43]
	v_add_f64 v[8:9], v[12:13], v[8:9]
	v_fma_f64 v[12:13], s[16:17], v[58:59], v[26:27]
	v_mul_f64 v[28:29], v[76:77], s[30:31]
	v_add_f64 v[10:11], v[12:13], v[10:11]
	v_fma_f64 v[12:13], v[72:73], s[24:25], -v[28:29]
	v_mul_f64 v[130:131], v[74:75], s[30:31]
	v_add_f64 v[8:9], v[12:13], v[8:9]
	v_fma_f64 v[12:13], s[24:25], v[70:71], v[130:131]
	v_mul_f64 v[132:133], v[84:85], s[34:35]
	v_fmac_f64_e32 v[6:7], s[20:21], v[64:65]
	v_add_f64 v[10:11], v[12:13], v[10:11]
	v_fma_f64 v[12:13], v[80:81], s[26:27], -v[132:133]
	v_mul_f64 v[134:135], v[82:83], s[34:35]
	v_add_f64 v[6:7], v[6:7], v[142:143]
	v_fma_f64 v[18:19], v[62:63], s[20:21], -v[18:19]
	v_fmac_f64_e32 v[20:21], s[18:19], v[68:69]
	v_add_f64 v[8:9], v[12:13], v[8:9]
	v_fma_f64 v[12:13], s[26:27], v[78:79], v[134:135]
	v_mul_f64 v[136:137], v[98:99], s[36:37]
	v_add_f64 v[18:19], v[18:19], v[144:145]
	v_add_f64 v[6:7], v[20:21], v[6:7]
	v_fma_f64 v[20:21], v[66:67], s[18:19], -v[22:23]
	v_add_f64 v[10:11], v[12:13], v[10:11]
	v_fma_f64 v[12:13], v[88:89], s[28:29], -v[136:137]
	v_mul_f64 v[138:139], v[96:97], s[36:37]
	v_add_f64 v[18:19], v[20:21], v[18:19]
	v_fma_f64 v[20:21], v[58:59], s[16:17], -v[26:27]
	v_add_f64 v[8:9], v[12:13], v[8:9]
	v_fma_f64 v[12:13], s[28:29], v[86:87], v[138:139]
	v_mul_f64 v[140:141], v[108:109], s[44:45]
	v_add_f64 v[18:19], v[20:21], v[18:19]
	v_fma_f64 v[20:21], v[70:71], s[24:25], -v[130:131]
	v_add_f64 v[12:13], v[12:13], v[10:11]
	v_fma_f64 v[10:11], v[104:105], s[38:39], -v[140:141]
	;; [unrolled: 2-line block ×3, first 2 shown]
	v_add_f64 v[10:11], v[10:11], v[8:9]
	v_mul_f64 v[8:9], v[106:107], s[44:45]
	v_add_f64 v[18:19], v[20:21], v[18:19]
	v_fma_f64 v[20:21], v[86:87], s[28:29], -v[138:139]
	v_fma_f64 v[158:159], s[38:39], v[102:103], v[8:9]
	v_fmac_f64_e32 v[24:25], s[16:17], v[60:61]
	v_add_f64 v[18:19], v[20:21], v[18:19]
	v_fma_f64 v[8:9], v[102:103], s[38:39], -v[8:9]
	v_mul_f64 v[22:23], v[56:57], s[42:43]
	v_add_f64 v[6:7], v[24:25], v[6:7]
	v_fmac_f64_e32 v[28:29], s[24:25], v[72:73]
	v_add_f64 v[8:9], v[8:9], v[18:19]
	v_fma_f64 v[18:19], v[64:65], s[16:17], -v[22:23]
	v_mul_f64 v[24:25], v[54:55], s[42:43]
	v_mul_f64 v[26:27], v[48:49], s[34:35]
	v_add_f64 v[6:7], v[28:29], v[6:7]
	v_add_f64 v[16:17], v[18:19], v[16:17]
	v_fma_f64 v[18:19], s[16:17], v[62:63], v[24:25]
	v_fma_f64 v[20:21], v[68:69], s[26:27], -v[26:27]
	v_mul_f64 v[28:29], v[46:47], s[34:35]
	v_fmac_f64_e32 v[132:133], s[26:27], v[80:81]
	v_add_f64 v[18:19], v[18:19], v[146:147]
	v_add_f64 v[16:17], v[20:21], v[16:17]
	v_fma_f64 v[20:21], s[26:27], v[66:67], v[28:29]
	v_mul_f64 v[130:131], v[52:53], s[44:45]
	v_add_f64 v[6:7], v[132:133], v[6:7]
	v_add_f64 v[18:19], v[20:21], v[18:19]
	v_fma_f64 v[20:21], v[60:61], s[38:39], -v[130:131]
	v_mul_f64 v[132:133], v[50:51], s[44:45]
	s_mov_b32 s61, 0x3fe0d888
	s_mov_b32 s60, s36
	v_fmac_f64_e32 v[136:137], s[28:29], v[88:89]
	v_add_f64 v[16:17], v[20:21], v[16:17]
	v_fma_f64 v[20:21], s[38:39], v[58:59], v[132:133]
	v_mul_f64 v[134:135], v[76:77], s[60:61]
	v_add_f64 v[6:7], v[136:137], v[6:7]
	v_add_f64 v[18:19], v[20:21], v[18:19]
	v_fma_f64 v[20:21], v[72:73], s[28:29], -v[134:135]
	v_mul_f64 v[136:137], v[74:75], s[60:61]
	s_mov_b32 s57, 0x3feec746
	s_mov_b32 s56, s30
	v_fmac_f64_e32 v[140:141], s[38:39], v[104:105]
	v_add_f64 v[16:17], v[20:21], v[16:17]
	v_fma_f64 v[20:21], s[28:29], v[70:71], v[136:137]
	v_mul_f64 v[138:139], v[84:85], s[56:57]
	v_fmac_f64_e32 v[22:23], s[16:17], v[64:65]
	v_add_f64 v[6:7], v[140:141], v[6:7]
	v_add_f64 v[18:19], v[20:21], v[18:19]
	v_fma_f64 v[20:21], v[80:81], s[24:25], -v[138:139]
	v_mul_f64 v[140:141], v[82:83], s[56:57]
	s_mov_b32 s49, 0x3feca52d
	s_mov_b32 s48, s52
	v_add_f64 v[14:15], v[22:23], v[14:15]
	v_fma_f64 v[22:23], v[62:63], s[16:17], -v[24:25]
	v_add_f64 v[16:17], v[20:21], v[16:17]
	v_fma_f64 v[20:21], s[24:25], v[78:79], v[140:141]
	v_mul_f64 v[142:143], v[98:99], s[48:49]
	v_add_f64 v[22:23], v[22:23], v[148:149]
	v_fma_f64 v[24:25], v[66:67], s[26:27], -v[28:29]
	v_add_f64 v[18:19], v[20:21], v[18:19]
	v_fma_f64 v[20:21], v[88:89], s[18:19], -v[142:143]
	v_mul_f64 v[144:145], v[96:97], s[48:49]
	s_mov_b32 s51, 0x3fd71e95
	s_mov_b32 s50, s40
	v_add_f64 v[22:23], v[24:25], v[22:23]
	v_fma_f64 v[24:25], v[58:59], s[38:39], -v[132:133]
	v_add_f64 v[16:17], v[20:21], v[16:17]
	v_fma_f64 v[20:21], s[18:19], v[86:87], v[144:145]
	v_mul_f64 v[146:147], v[108:109], s[50:51]
	v_add_f64 v[22:23], v[24:25], v[22:23]
	v_fma_f64 v[24:25], v[70:71], s[28:29], -v[136:137]
	v_add_f64 v[20:21], v[20:21], v[18:19]
	v_fma_f64 v[18:19], v[104:105], s[22:23], -v[146:147]
	;; [unrolled: 2-line block ×3, first 2 shown]
	v_add_f64 v[18:19], v[18:19], v[16:17]
	v_mul_f64 v[16:17], v[106:107], s[50:51]
	v_add_f64 v[22:23], v[24:25], v[22:23]
	v_fma_f64 v[24:25], v[86:87], s[18:19], -v[144:145]
	v_add_f64 v[12:13], v[158:159], v[12:13]
	v_fma_f64 v[158:159], s[22:23], v[102:103], v[16:17]
	v_fmac_f64_e32 v[26:27], s[26:27], v[68:69]
	v_add_f64 v[22:23], v[24:25], v[22:23]
	v_fma_f64 v[16:17], v[102:103], s[22:23], -v[16:17]
	v_add_f64 v[14:15], v[26:27], v[14:15]
	v_fmac_f64_e32 v[130:131], s[38:39], v[60:61]
	v_add_f64 v[16:17], v[16:17], v[22:23]
	v_mul_f64 v[22:23], v[56:57], s[34:35]
	s_mov_b32 s65, 0x3fc7851a
	s_mov_b32 s64, s44
	v_add_f64 v[14:15], v[130:131], v[14:15]
	v_fmac_f64_e32 v[134:135], s[28:29], v[72:73]
	v_fma_f64 v[24:25], v[64:65], s[26:27], -v[22:23]
	v_mul_f64 v[130:131], v[54:55], s[34:35]
	v_mul_f64 v[132:133], v[48:49], s[64:65]
	v_add_f64 v[14:15], v[134:135], v[14:15]
	v_add_f64 v[24:25], v[24:25], v[150:151]
	v_fma_f64 v[26:27], s[26:27], v[62:63], v[130:131]
	v_fma_f64 v[28:29], v[68:69], s[38:39], -v[132:133]
	v_mul_f64 v[134:135], v[46:47], s[64:65]
	v_fmac_f64_e32 v[138:139], s[24:25], v[80:81]
	v_add_f64 v[26:27], v[26:27], v[152:153]
	v_add_f64 v[24:25], v[28:29], v[24:25]
	v_fma_f64 v[28:29], s[38:39], v[66:67], v[134:135]
	v_mul_f64 v[136:137], v[52:53], s[56:57]
	v_add_f64 v[14:15], v[138:139], v[14:15]
	v_add_f64 v[26:27], v[28:29], v[26:27]
	v_fma_f64 v[28:29], v[60:61], s[24:25], -v[136:137]
	v_mul_f64 v[138:139], v[50:51], s[56:57]
	s_mov_b32 s55, 0x3fe58eea
	s_mov_b32 s54, s46
	v_fmac_f64_e32 v[142:143], s[18:19], v[88:89]
	v_add_f64 v[24:25], v[28:29], v[24:25]
	v_fma_f64 v[28:29], s[24:25], v[58:59], v[138:139]
	v_mul_f64 v[140:141], v[76:77], s[54:55]
	v_add_f64 v[14:15], v[142:143], v[14:15]
	v_add_f64 v[26:27], v[28:29], v[26:27]
	v_fma_f64 v[28:29], v[72:73], s[20:21], -v[140:141]
	v_mul_f64 v[142:143], v[74:75], s[54:55]
	v_fmac_f64_e32 v[146:147], s[22:23], v[104:105]
	v_add_f64 v[24:25], v[28:29], v[24:25]
	v_fma_f64 v[28:29], s[20:21], v[70:71], v[142:143]
	v_mul_f64 v[144:145], v[84:85], s[40:41]
	v_fmac_f64_e32 v[22:23], s[26:27], v[64:65]
	v_add_f64 v[14:15], v[146:147], v[14:15]
	v_add_f64 v[26:27], v[28:29], v[26:27]
	v_fma_f64 v[28:29], v[80:81], s[22:23], -v[144:145]
	v_mul_f64 v[146:147], v[82:83], s[40:41]
	v_add_f64 v[22:23], v[22:23], v[154:155]
	v_fma_f64 v[130:131], v[62:63], s[26:27], -v[130:131]
	v_fmac_f64_e32 v[132:133], s[38:39], v[68:69]
	v_add_f64 v[24:25], v[28:29], v[24:25]
	v_fma_f64 v[28:29], s[22:23], v[78:79], v[146:147]
	v_mul_f64 v[148:149], v[98:99], s[42:43]
	v_add_f64 v[130:131], v[130:131], v[156:157]
	v_add_f64 v[22:23], v[132:133], v[22:23]
	v_fma_f64 v[132:133], v[66:67], s[38:39], -v[134:135]
	v_add_f64 v[26:27], v[28:29], v[26:27]
	v_fma_f64 v[28:29], v[88:89], s[16:17], -v[148:149]
	v_mul_f64 v[150:151], v[96:97], s[42:43]
	v_add_f64 v[130:131], v[132:133], v[130:131]
	v_fma_f64 v[132:133], v[58:59], s[24:25], -v[138:139]
	v_add_f64 v[24:25], v[28:29], v[24:25]
	v_fma_f64 v[28:29], s[16:17], v[86:87], v[150:151]
	v_mul_f64 v[152:153], v[108:109], s[36:37]
	v_add_f64 v[130:131], v[132:133], v[130:131]
	v_fma_f64 v[132:133], v[70:71], s[20:21], -v[142:143]
	v_add_f64 v[28:29], v[28:29], v[26:27]
	v_fma_f64 v[26:27], v[104:105], s[28:29], -v[152:153]
	;; [unrolled: 2-line block ×3, first 2 shown]
	v_add_f64 v[26:27], v[26:27], v[24:25]
	v_mul_f64 v[24:25], v[106:107], s[36:37]
	v_add_f64 v[130:131], v[132:133], v[130:131]
	v_fma_f64 v[132:133], v[86:87], s[16:17], -v[150:151]
	v_add_f64 v[20:21], v[158:159], v[20:21]
	v_fma_f64 v[158:159], s[28:29], v[102:103], v[24:25]
	v_add_f64 v[130:131], v[132:133], v[130:131]
	v_fma_f64 v[24:25], v[102:103], s[28:29], -v[24:25]
	v_add_f64 v[24:25], v[24:25], v[130:131]
	v_mul_f64 v[130:131], v[56:57], s[44:45]
	v_fma_f64 v[132:133], v[64:65], s[38:39], -v[130:131]
	v_add_f64 v[36:37], v[132:133], v[36:37]
	v_mul_f64 v[132:133], v[54:55], s[44:45]
	v_fma_f64 v[134:135], s[38:39], v[62:63], v[132:133]
	v_fmac_f64_e32 v[136:137], s[24:25], v[60:61]
	v_add_f64 v[34:35], v[134:135], v[34:35]
	v_mul_f64 v[134:135], v[48:49], s[56:57]
	v_add_f64 v[22:23], v[136:137], v[22:23]
	v_fma_f64 v[136:137], v[68:69], s[24:25], -v[134:135]
	v_add_f64 v[36:37], v[136:137], v[36:37]
	v_mul_f64 v[136:137], v[46:47], s[56:57]
	v_fma_f64 v[138:139], s[24:25], v[66:67], v[136:137]
	v_fmac_f64_e32 v[140:141], s[20:21], v[72:73]
	v_add_f64 v[34:35], v[138:139], v[34:35]
	v_mul_f64 v[138:139], v[52:53], s[50:51]
	v_add_f64 v[22:23], v[140:141], v[22:23]
	;; [unrolled: 8-line block ×4, first 2 shown]
	v_fma_f64 v[148:149], v[80:81], s[28:29], -v[146:147]
	v_add_f64 v[36:37], v[148:149], v[36:37]
	v_mul_f64 v[148:149], v[82:83], s[36:37]
	v_fmac_f64_e32 v[130:131], s[38:39], v[64:65]
	v_fma_f64 v[150:151], s[28:29], v[78:79], v[148:149]
	s_mov_b32 s63, 0x3fe9895b
	s_mov_b32 s62, s34
	v_add_f64 v[32:33], v[130:131], v[32:33]
	v_fma_f64 v[130:131], v[62:63], s[38:39], -v[132:133]
	v_fmac_f64_e32 v[134:135], s[24:25], v[68:69]
	v_fmac_f64_e32 v[152:153], s[28:29], v[104:105]
	v_add_f64 v[34:35], v[150:151], v[34:35]
	v_mul_f64 v[150:151], v[98:99], s[62:63]
	v_add_f64 v[30:31], v[130:131], v[30:31]
	v_add_f64 v[32:33], v[134:135], v[32:33]
	v_fma_f64 v[130:131], v[66:67], s[24:25], -v[136:137]
	v_fmac_f64_e32 v[138:139], s[22:23], v[60:61]
	v_add_f64 v[22:23], v[152:153], v[22:23]
	v_fma_f64 v[152:153], v[88:89], s[26:27], -v[150:151]
	v_add_f64 v[30:31], v[130:131], v[30:31]
	v_add_f64 v[32:33], v[138:139], v[32:33]
	v_fma_f64 v[130:131], v[58:59], s[22:23], -v[140:141]
	v_fmac_f64_e32 v[142:143], s[18:19], v[72:73]
	v_add_f64 v[36:37], v[152:153], v[36:37]
	v_mul_f64 v[152:153], v[96:97], s[62:63]
	v_add_f64 v[30:31], v[130:131], v[30:31]
	v_add_f64 v[32:33], v[142:143], v[32:33]
	v_fma_f64 v[130:131], v[70:71], s[18:19], -v[144:145]
	v_fmac_f64_e32 v[146:147], s[28:29], v[80:81]
	v_fma_f64 v[154:155], s[26:27], v[86:87], v[152:153]
	v_mul_f64 v[156:157], v[108:109], s[54:55]
	v_add_f64 v[30:31], v[130:131], v[30:31]
	v_add_f64 v[32:33], v[146:147], v[32:33]
	v_fma_f64 v[130:131], v[78:79], s[28:29], -v[148:149]
	v_fmac_f64_e32 v[150:151], s[26:27], v[88:89]
	v_add_f64 v[28:29], v[158:159], v[28:29]
	v_add_f64 v[154:155], v[154:155], v[34:35]
	v_fma_f64 v[34:35], v[104:105], s[20:21], -v[156:157]
	v_mul_f64 v[158:159], v[106:107], s[54:55]
	v_add_f64 v[30:31], v[130:131], v[30:31]
	v_add_f64 v[32:33], v[150:151], v[32:33]
	v_fma_f64 v[130:131], v[86:87], s[26:27], -v[152:153]
	v_fmac_f64_e32 v[156:157], s[20:21], v[104:105]
	v_add_f64 v[130:131], v[130:131], v[30:31]
	v_add_f64 v[30:31], v[156:157], v[32:33]
	v_fma_f64 v[32:33], v[102:103], s[20:21], -v[158:159]
	v_add_f64 v[32:33], v[32:33], v[130:131]
	v_mul_f64 v[130:131], v[56:57], s[60:61]
	v_fma_f64 v[132:133], v[64:65], s[28:29], -v[130:131]
	v_add_f64 v[44:45], v[132:133], v[44:45]
	v_mul_f64 v[132:133], v[54:55], s[60:61]
	v_fma_f64 v[134:135], s[28:29], v[62:63], v[132:133]
	v_add_f64 v[42:43], v[134:135], v[42:43]
	v_mul_f64 v[134:135], v[48:49], s[54:55]
	v_fma_f64 v[136:137], v[68:69], s[20:21], -v[134:135]
	v_add_f64 v[44:45], v[136:137], v[44:45]
	v_mul_f64 v[136:137], v[46:47], s[54:55]
	v_fma_f64 v[138:139], s[20:21], v[66:67], v[136:137]
	;; [unrolled: 6-line block ×4, first 2 shown]
	s_mov_b32 s59, 0x3fefdd0d
	s_mov_b32 s58, s42
	v_add_f64 v[42:43], v[146:147], v[42:43]
	v_mul_f64 v[146:147], v[84:85], s[58:59]
	v_fma_f64 v[148:149], v[80:81], s[16:17], -v[146:147]
	v_add_f64 v[44:45], v[148:149], v[44:45]
	v_mul_f64 v[148:149], v[82:83], s[58:59]
	v_fmac_f64_e32 v[130:131], s[28:29], v[64:65]
	v_fma_f64 v[150:151], s[16:17], v[78:79], v[148:149]
	v_add_f64 v[40:41], v[130:131], v[40:41]
	v_fma_f64 v[130:131], v[62:63], s[28:29], -v[132:133]
	v_fmac_f64_e32 v[134:135], s[20:21], v[68:69]
	v_add_f64 v[42:43], v[150:151], v[42:43]
	v_mul_f64 v[150:151], v[98:99], s[40:41]
	v_add_f64 v[38:39], v[130:131], v[38:39]
	v_add_f64 v[40:41], v[134:135], v[40:41]
	v_fma_f64 v[130:131], v[66:67], s[20:21], -v[136:137]
	v_fmac_f64_e32 v[138:139], s[18:19], v[60:61]
	v_fma_f64 v[152:153], v[88:89], s[22:23], -v[150:151]
	v_add_f64 v[38:39], v[130:131], v[38:39]
	v_add_f64 v[40:41], v[138:139], v[40:41]
	v_fma_f64 v[130:131], v[58:59], s[18:19], -v[140:141]
	v_fmac_f64_e32 v[142:143], s[38:39], v[72:73]
	v_add_f64 v[34:35], v[34:35], v[36:37]
	v_fma_f64 v[36:37], s[20:21], v[102:103], v[158:159]
	v_add_f64 v[44:45], v[152:153], v[44:45]
	v_mul_f64 v[152:153], v[96:97], s[40:41]
	v_add_f64 v[38:39], v[130:131], v[38:39]
	v_add_f64 v[40:41], v[142:143], v[40:41]
	v_fma_f64 v[130:131], v[70:71], s[38:39], -v[144:145]
	v_fmac_f64_e32 v[146:147], s[16:17], v[80:81]
	v_add_f64 v[36:37], v[36:37], v[154:155]
	v_fma_f64 v[154:155], s[22:23], v[86:87], v[152:153]
	v_mul_f64 v[156:157], v[108:109], s[34:35]
	v_add_f64 v[38:39], v[130:131], v[38:39]
	v_add_f64 v[40:41], v[146:147], v[40:41]
	v_fma_f64 v[130:131], v[78:79], s[16:17], -v[148:149]
	v_fmac_f64_e32 v[150:151], s[22:23], v[88:89]
	v_add_f64 v[154:155], v[154:155], v[42:43]
	v_fma_f64 v[42:43], v[104:105], s[26:27], -v[156:157]
	v_mul_f64 v[158:159], v[106:107], s[34:35]
	v_add_f64 v[38:39], v[130:131], v[38:39]
	v_add_f64 v[40:41], v[150:151], v[40:41]
	v_fma_f64 v[130:131], v[86:87], s[22:23], -v[152:153]
	v_fmac_f64_e32 v[156:157], s[26:27], v[104:105]
	v_add_f64 v[130:131], v[130:131], v[38:39]
	v_add_f64 v[38:39], v[156:157], v[40:41]
	v_fma_f64 v[40:41], v[102:103], s[26:27], -v[158:159]
	v_add_f64 v[40:41], v[40:41], v[130:131]
	v_mul_f64 v[130:131], v[56:57], s[56:57]
	v_fma_f64 v[132:133], v[64:65], s[24:25], -v[130:131]
	v_add_f64 v[124:125], v[132:133], v[124:125]
	v_mul_f64 v[132:133], v[54:55], s[56:57]
	v_fma_f64 v[134:135], s[24:25], v[62:63], v[132:133]
	v_add_f64 v[122:123], v[134:135], v[122:123]
	v_mul_f64 v[134:135], v[48:49], s[40:41]
	v_fma_f64 v[136:137], v[68:69], s[22:23], -v[134:135]
	v_add_f64 v[124:125], v[136:137], v[124:125]
	v_mul_f64 v[136:137], v[46:47], s[40:41]
	v_fma_f64 v[138:139], s[22:23], v[66:67], v[136:137]
	;; [unrolled: 6-line block ×4, first 2 shown]
	v_add_f64 v[122:123], v[146:147], v[122:123]
	v_mul_f64 v[146:147], v[84:85], s[46:47]
	v_fma_f64 v[148:149], v[80:81], s[20:21], -v[146:147]
	v_add_f64 v[124:125], v[148:149], v[124:125]
	v_mul_f64 v[148:149], v[82:83], s[46:47]
	v_fmac_f64_e32 v[130:131], s[24:25], v[64:65]
	v_fma_f64 v[150:151], s[20:21], v[78:79], v[148:149]
	v_add_f64 v[120:121], v[130:131], v[120:121]
	v_fma_f64 v[130:131], v[62:63], s[24:25], -v[132:133]
	v_fmac_f64_e32 v[134:135], s[22:23], v[68:69]
	v_add_f64 v[122:123], v[150:151], v[122:123]
	v_mul_f64 v[150:151], v[98:99], s[44:45]
	v_add_f64 v[118:119], v[130:131], v[118:119]
	v_add_f64 v[120:121], v[134:135], v[120:121]
	v_fma_f64 v[130:131], v[66:67], s[22:23], -v[136:137]
	v_fmac_f64_e32 v[138:139], s[28:29], v[60:61]
	v_fma_f64 v[152:153], v[88:89], s[38:39], -v[150:151]
	v_add_f64 v[118:119], v[130:131], v[118:119]
	v_add_f64 v[120:121], v[138:139], v[120:121]
	v_fma_f64 v[130:131], v[58:59], s[28:29], -v[140:141]
	v_fmac_f64_e32 v[142:143], s[16:17], v[72:73]
	v_add_f64 v[42:43], v[42:43], v[44:45]
	v_fma_f64 v[44:45], s[26:27], v[102:103], v[158:159]
	v_add_f64 v[124:125], v[152:153], v[124:125]
	v_mul_f64 v[152:153], v[96:97], s[44:45]
	v_add_f64 v[118:119], v[130:131], v[118:119]
	v_add_f64 v[120:121], v[142:143], v[120:121]
	v_fma_f64 v[130:131], v[70:71], s[16:17], -v[144:145]
	v_fmac_f64_e32 v[146:147], s[20:21], v[80:81]
	v_add_f64 v[44:45], v[44:45], v[154:155]
	v_fma_f64 v[154:155], s[38:39], v[86:87], v[152:153]
	v_mul_f64 v[156:157], v[108:109], s[48:49]
	v_add_f64 v[118:119], v[130:131], v[118:119]
	v_add_f64 v[120:121], v[146:147], v[120:121]
	v_fma_f64 v[130:131], v[78:79], s[20:21], -v[148:149]
	v_fmac_f64_e32 v[150:151], s[38:39], v[88:89]
	v_add_f64 v[154:155], v[154:155], v[122:123]
	v_fma_f64 v[122:123], v[104:105], s[18:19], -v[156:157]
	v_mul_f64 v[158:159], v[106:107], s[48:49]
	v_add_f64 v[118:119], v[130:131], v[118:119]
	v_add_f64 v[120:121], v[150:151], v[120:121]
	v_fma_f64 v[130:131], v[86:87], s[38:39], -v[152:153]
	v_fmac_f64_e32 v[156:157], s[18:19], v[104:105]
	v_add_f64 v[130:131], v[130:131], v[118:119]
	v_add_f64 v[118:119], v[156:157], v[120:121]
	v_fma_f64 v[120:121], v[102:103], s[18:19], -v[158:159]
	v_add_f64 v[120:121], v[120:121], v[130:131]
	v_mul_f64 v[130:131], v[56:57], s[48:49]
	v_fma_f64 v[132:133], v[64:65], s[18:19], -v[130:131]
	v_add_f64 v[116:117], v[132:133], v[116:117]
	v_mul_f64 v[132:133], v[54:55], s[48:49]
	v_fma_f64 v[134:135], s[18:19], v[62:63], v[132:133]
	v_add_f64 v[114:115], v[134:135], v[114:115]
	v_mul_f64 v[134:135], v[48:49], s[42:43]
	v_fma_f64 v[136:137], v[68:69], s[16:17], -v[134:135]
	v_add_f64 v[116:117], v[136:137], v[116:117]
	v_mul_f64 v[136:137], v[46:47], s[42:43]
	v_fma_f64 v[138:139], s[16:17], v[66:67], v[136:137]
	v_add_f64 v[114:115], v[138:139], v[114:115]
	v_mul_f64 v[138:139], v[52:53], s[62:63]
	v_fma_f64 v[140:141], v[60:61], s[26:27], -v[138:139]
	v_add_f64 v[116:117], v[140:141], v[116:117]
	v_mul_f64 v[140:141], v[50:51], s[62:63]
	v_fma_f64 v[142:143], s[26:27], v[58:59], v[140:141]
	v_add_f64 v[114:115], v[142:143], v[114:115]
	v_mul_f64 v[142:143], v[76:77], s[40:41]
	v_fma_f64 v[144:145], v[72:73], s[22:23], -v[142:143]
	v_add_f64 v[116:117], v[144:145], v[116:117]
	v_mul_f64 v[144:145], v[74:75], s[40:41]
	v_fma_f64 v[146:147], s[22:23], v[70:71], v[144:145]
	v_add_f64 v[114:115], v[146:147], v[114:115]
	v_mul_f64 v[146:147], v[84:85], s[44:45]
	v_fma_f64 v[148:149], v[80:81], s[38:39], -v[146:147]
	v_add_f64 v[116:117], v[148:149], v[116:117]
	v_mul_f64 v[148:149], v[82:83], s[44:45]
	v_fmac_f64_e32 v[130:131], s[18:19], v[64:65]
	v_fma_f64 v[150:151], s[38:39], v[78:79], v[148:149]
	v_add_f64 v[112:113], v[130:131], v[112:113]
	v_fma_f64 v[130:131], v[62:63], s[18:19], -v[132:133]
	v_fmac_f64_e32 v[134:135], s[16:17], v[68:69]
	v_add_f64 v[114:115], v[150:151], v[114:115]
	v_mul_f64 v[150:151], v[98:99], s[54:55]
	v_add_f64 v[110:111], v[130:131], v[110:111]
	v_add_f64 v[112:113], v[134:135], v[112:113]
	v_fma_f64 v[130:131], v[66:67], s[16:17], -v[136:137]
	v_fmac_f64_e32 v[138:139], s[26:27], v[60:61]
	v_fma_f64 v[152:153], v[88:89], s[20:21], -v[150:151]
	v_add_f64 v[110:111], v[130:131], v[110:111]
	v_add_f64 v[112:113], v[138:139], v[112:113]
	v_fma_f64 v[130:131], v[58:59], s[26:27], -v[140:141]
	v_fmac_f64_e32 v[142:143], s[22:23], v[72:73]
	v_add_f64 v[122:123], v[122:123], v[124:125]
	v_fma_f64 v[124:125], s[18:19], v[102:103], v[158:159]
	v_add_f64 v[116:117], v[152:153], v[116:117]
	v_mul_f64 v[152:153], v[96:97], s[54:55]
	v_add_f64 v[110:111], v[130:131], v[110:111]
	v_add_f64 v[112:113], v[142:143], v[112:113]
	v_fma_f64 v[130:131], v[70:71], s[22:23], -v[144:145]
	v_fmac_f64_e32 v[146:147], s[38:39], v[80:81]
	v_add_f64 v[124:125], v[124:125], v[154:155]
	v_fma_f64 v[154:155], s[20:21], v[86:87], v[152:153]
	v_mul_f64 v[156:157], v[108:109], s[30:31]
	v_add_f64 v[110:111], v[130:131], v[110:111]
	v_add_f64 v[112:113], v[146:147], v[112:113]
	v_fma_f64 v[130:131], v[78:79], s[38:39], -v[148:149]
	v_fmac_f64_e32 v[150:151], s[20:21], v[88:89]
	v_add_f64 v[154:155], v[154:155], v[114:115]
	v_fma_f64 v[114:115], v[104:105], s[24:25], -v[156:157]
	v_mul_f64 v[158:159], v[106:107], s[30:31]
	v_add_f64 v[110:111], v[130:131], v[110:111]
	v_add_f64 v[112:113], v[150:151], v[112:113]
	v_fma_f64 v[130:131], v[86:87], s[20:21], -v[152:153]
	v_fmac_f64_e32 v[156:157], s[24:25], v[104:105]
	v_add_f64 v[130:131], v[130:131], v[110:111]
	v_add_f64 v[110:111], v[156:157], v[112:113]
	v_fma_f64 v[112:113], v[102:103], s[24:25], -v[158:159]
	v_mul_f64 v[56:57], v[56:57], s[50:51]
	v_add_f64 v[112:113], v[112:113], v[130:131]
	v_fma_f64 v[130:131], v[64:65], s[22:23], -v[56:57]
	v_mul_f64 v[54:55], v[54:55], s[50:51]
	v_add_f64 v[100:101], v[130:131], v[100:101]
	v_fma_f64 v[130:131], s[22:23], v[62:63], v[54:55]
	v_add_f64 v[94:95], v[130:131], v[94:95]
	v_mul_f64 v[130:131], v[48:49], s[36:37]
	v_fma_f64 v[48:49], v[68:69], s[28:29], -v[130:131]
	v_add_f64 v[48:49], v[48:49], v[100:101]
	v_mul_f64 v[100:101], v[46:47], s[36:37]
	v_fma_f64 v[46:47], s[28:29], v[66:67], v[100:101]
	v_mul_f64 v[52:53], v[52:53], s[54:55]
	v_add_f64 v[46:47], v[46:47], v[94:95]
	v_fma_f64 v[94:95], v[60:61], s[20:21], -v[52:53]
	v_mul_f64 v[50:51], v[50:51], s[54:55]
	v_add_f64 v[48:49], v[94:95], v[48:49]
	v_fma_f64 v[94:95], s[20:21], v[58:59], v[50:51]
	v_mul_f64 v[76:77], v[76:77], s[34:35]
	v_add_f64 v[46:47], v[94:95], v[46:47]
	v_fma_f64 v[94:95], v[72:73], s[26:27], -v[76:77]
	v_mul_f64 v[74:75], v[74:75], s[34:35]
	v_add_f64 v[48:49], v[94:95], v[48:49]
	v_fma_f64 v[94:95], s[26:27], v[70:71], v[74:75]
	v_mul_f64 v[84:85], v[84:85], s[48:49]
	v_fmac_f64_e32 v[56:57], s[22:23], v[64:65]
	v_fma_f64 v[54:55], v[62:63], s[22:23], -v[54:55]
	v_add_f64 v[46:47], v[94:95], v[46:47]
	v_fma_f64 v[94:95], v[80:81], s[18:19], -v[84:85]
	v_mul_f64 v[82:83], v[82:83], s[48:49]
	v_add_f64 v[56:57], v[56:57], v[92:93]
	v_add_f64 v[54:55], v[54:55], v[90:91]
	v_fmac_f64_e32 v[130:131], s[28:29], v[68:69]
	v_fma_f64 v[62:63], v[66:67], s[28:29], -v[100:101]
	v_add_f64 v[48:49], v[94:95], v[48:49]
	v_fma_f64 v[94:95], s[18:19], v[78:79], v[82:83]
	v_add_f64 v[56:57], v[130:131], v[56:57]
	v_add_f64 v[54:55], v[62:63], v[54:55]
	v_fmac_f64_e32 v[52:53], s[20:21], v[60:61]
	v_fma_f64 v[50:51], v[58:59], s[20:21], -v[50:51]
	v_add_f64 v[46:47], v[94:95], v[46:47]
	v_mul_f64 v[94:95], v[98:99], s[30:31]
	v_add_f64 v[52:53], v[52:53], v[56:57]
	v_add_f64 v[50:51], v[50:51], v[54:55]
	v_fmac_f64_e32 v[76:77], s[26:27], v[72:73]
	v_fma_f64 v[54:55], v[70:71], s[26:27], -v[74:75]
	v_fma_f64 v[98:99], v[88:89], s[24:25], -v[94:95]
	v_mul_f64 v[96:97], v[96:97], s[30:31]
	v_add_f64 v[52:53], v[76:77], v[52:53]
	v_add_f64 v[50:51], v[54:55], v[50:51]
	v_fmac_f64_e32 v[84:85], s[18:19], v[80:81]
	v_fma_f64 v[54:55], v[78:79], s[18:19], -v[82:83]
	v_add_f64 v[48:49], v[98:99], v[48:49]
	v_fma_f64 v[98:99], s[24:25], v[86:87], v[96:97]
	v_mul_f64 v[108:109], v[108:109], s[58:59]
	v_mul_f64 v[106:107], v[106:107], s[58:59]
	v_add_f64 v[52:53], v[84:85], v[52:53]
	v_add_f64 v[50:51], v[54:55], v[50:51]
	v_fmac_f64_e32 v[94:95], s[24:25], v[88:89]
	v_fma_f64 v[54:55], v[86:87], s[24:25], -v[96:97]
	v_add_f64 v[98:99], v[98:99], v[46:47]
	v_fma_f64 v[46:47], v[104:105], s[16:17], -v[108:109]
	v_add_f64 v[52:53], v[94:95], v[52:53]
	v_add_f64 v[54:55], v[54:55], v[50:51]
	v_fmac_f64_e32 v[108:109], s[16:17], v[104:105]
	v_fma_f64 v[56:57], v[102:103], s[16:17], -v[106:107]
	s_movk_i32 s11, 0x110
	v_add_f64 v[114:115], v[114:115], v[116:117]
	v_fma_f64 v[116:117], s[24:25], v[102:103], v[158:159]
	v_add_f64 v[46:47], v[46:47], v[48:49]
	v_fma_f64 v[48:49], s[16:17], v[102:103], v[106:107]
	v_add_f64 v[50:51], v[108:109], v[52:53]
	v_add_f64 v[52:53], v[56:57], v[54:55]
	v_mad_u32_u24 v54, v127, s11, v128
	v_add_f64 v[116:117], v[116:117], v[154:155]
	v_add_f64 v[48:49], v[48:49], v[98:99]
	s_barrier
	ds_write_b128 v54, v[2:5]
	ds_write_b128 v54, v[10:13] offset:16
	ds_write_b128 v54, v[18:21] offset:32
	;; [unrolled: 1-line block ×16, first 2 shown]
	v_lshlrev_b32_e32 v42, 8, v127
	s_waitcnt lgkmcnt(0)
	s_barrier
	global_load_dwordx4 v[14:17], v42, s[4:5]
	global_load_dwordx4 v[10:13], v42, s[4:5] offset:16
	global_load_dwordx4 v[6:9], v42, s[4:5] offset:32
	;; [unrolled: 1-line block ×15, first 2 shown]
	ds_read_b128 v[50:53], v1 offset:272
	ds_read_b128 v[66:69], v1 offset:544
	;; [unrolled: 1-line block ×3, first 2 shown]
	ds_read_b128 v[42:45], v126
	s_mul_i32 s4, s9, s13
	s_mul_hi_u32 s5, s8, s13
	s_mul_i32 s66, s66, s10
	s_add_i32 s5, s5, s4
	s_mul_i32 s4, s8, s13
	s_add_u32 s4, s4, s66
	s_mul_i32 s10, s15, s33
	s_mul_hi_u32 s11, s14, s33
	s_addc_u32 s5, s5, 0
	s_add_i32 s11, s11, s10
	s_mul_i32 s10, s14, s33
	s_add_u32 s4, s4, s10
	s_addc_u32 s5, s5, s11
	s_andn2_b64 vcc, exec, s[6:7]
	s_waitcnt vmcnt(15) lgkmcnt(3)
	v_mul_f64 v[58:59], v[52:53], v[16:17]
	v_fma_f64 v[58:59], v[50:51], v[14:15], -v[58:59]
	v_mul_f64 v[50:51], v[50:51], v[16:17]
	v_fmac_f64_e32 v[50:51], v[52:53], v[14:15]
	s_waitcnt vmcnt(14) lgkmcnt(2)
	v_mul_f64 v[14:15], v[68:69], v[12:13]
	v_mul_f64 v[60:61], v[66:67], v[12:13]
	v_fma_f64 v[52:53], v[66:67], v[10:11], -v[14:15]
	v_fmac_f64_e32 v[60:61], v[68:69], v[10:11]
	ds_read_b128 v[10:13], v1 offset:1088
	ds_read_b128 v[14:17], v1 offset:1360
	s_waitcnt vmcnt(13) lgkmcnt(3)
	v_mul_f64 v[66:67], v[84:85], v[8:9]
	v_mul_f64 v[76:77], v[82:83], v[8:9]
	v_fma_f64 v[68:69], v[82:83], v[6:7], -v[66:67]
	v_fmac_f64_e32 v[76:77], v[84:85], v[6:7]
	s_waitcnt vmcnt(12) lgkmcnt(1)
	v_mul_f64 v[6:7], v[12:13], v[4:5]
	v_mul_f64 v[92:93], v[10:11], v[4:5]
	v_fma_f64 v[84:85], v[10:11], v[2:3], -v[6:7]
	v_fmac_f64_e32 v[92:93], v[12:13], v[2:3]
	ds_read_b128 v[2:5], v1 offset:1632
	ds_read_b128 v[6:9], v1 offset:1904
	s_waitcnt vmcnt(11) lgkmcnt(2)
	v_mul_f64 v[10:11], v[16:17], v[32:33]
	v_fma_f64 v[100:101], v[14:15], v[30:31], -v[10:11]
	v_mul_f64 v[104:105], v[14:15], v[32:33]
	s_waitcnt vmcnt(10) lgkmcnt(1)
	v_mul_f64 v[10:11], v[4:5], v[28:29]
	v_mul_f64 v[112:113], v[2:3], v[28:29]
	v_fma_f64 v[108:109], v[2:3], v[26:27], -v[10:11]
	v_fmac_f64_e32 v[112:113], v[4:5], v[26:27]
	ds_read_b128 v[2:5], v1 offset:2176
	ds_read_b128 v[26:29], v1 offset:2448
	s_waitcnt vmcnt(9) lgkmcnt(2)
	v_mul_f64 v[10:11], v[8:9], v[24:25]
	v_fmac_f64_e32 v[104:105], v[16:17], v[30:31]
	v_fma_f64 v[16:17], v[6:7], v[22:23], -v[10:11]
	v_mul_f64 v[14:15], v[6:7], v[24:25]
	s_waitcnt vmcnt(8) lgkmcnt(1)
	v_mul_f64 v[6:7], v[4:5], v[20:21]
	v_fmac_f64_e32 v[14:15], v[8:9], v[22:23]
	v_fma_f64 v[8:9], v[2:3], v[18:19], -v[6:7]
	v_mul_f64 v[6:7], v[2:3], v[20:21]
	v_fmac_f64_e32 v[6:7], v[4:5], v[18:19]
	ds_read_b128 v[2:5], v1 offset:2720
	ds_read_b128 v[22:25], v1 offset:2992
	s_waitcnt vmcnt(7) lgkmcnt(2)
	v_mul_f64 v[10:11], v[28:29], v[40:41]
	v_fma_f64 v[12:13], v[26:27], v[38:39], -v[10:11]
	v_mul_f64 v[10:11], v[26:27], v[40:41]
	s_waitcnt vmcnt(6) lgkmcnt(1)
	v_mul_f64 v[18:19], v[4:5], v[36:37]
	v_fma_f64 v[20:21], v[2:3], v[34:35], -v[18:19]
	v_mul_f64 v[18:19], v[2:3], v[36:37]
	v_fmac_f64_e32 v[18:19], v[4:5], v[34:35]
	ds_read_b128 v[2:5], v1 offset:3264
	s_waitcnt vmcnt(5) lgkmcnt(1)
	v_mul_f64 v[26:27], v[24:25], v[48:49]
	v_mul_f64 v[114:115], v[22:23], v[48:49]
	v_fma_f64 v[110:111], v[22:23], v[46:47], -v[26:27]
	v_fmac_f64_e32 v[114:115], v[24:25], v[46:47]
	ds_read_b128 v[22:25], v1 offset:3536
	s_waitcnt vmcnt(4) lgkmcnt(1)
	v_mul_f64 v[26:27], v[4:5], v[56:57]
	v_mul_f64 v[106:107], v[2:3], v[56:57]
	v_fma_f64 v[102:103], v[2:3], v[54:55], -v[26:27]
	;; [unrolled: 6-line block ×4, first 2 shown]
	v_fmac_f64_e32 v[82:83], v[4:5], v[70:71]
	ds_read_b128 v[2:5], v1 offset:4352
	s_waitcnt vmcnt(1) lgkmcnt(1)
	v_mul_f64 v[26:27], v[24:25], v[80:81]
	v_fma_f64 v[66:67], v[22:23], v[78:79], -v[26:27]
	v_mul_f64 v[118:119], v[22:23], v[80:81]
	v_fmac_f64_e32 v[118:119], v[24:25], v[78:79]
	s_waitcnt vmcnt(0) lgkmcnt(0)
	v_mul_f64 v[22:23], v[4:5], v[88:89]
	v_fma_f64 v[22:23], v[2:3], v[86:87], -v[22:23]
	v_mul_f64 v[24:25], v[2:3], v[88:89]
	v_add_f64 v[2:3], v[42:43], v[58:59]
	v_fmac_f64_e32 v[24:25], v[4:5], v[86:87]
	v_add_f64 v[2:3], v[2:3], v[52:53]
	v_add_f64 v[4:5], v[44:45], v[50:51]
	;; [unrolled: 1-line block ×14, first 2 shown]
	v_fmac_f64_e32 v[10:11], v[28:29], v[38:39]
	v_add_f64 v[4:5], v[4:5], v[6:7]
	v_add_f64 v[2:3], v[2:3], v[12:13]
	;; [unrolled: 1-line block ×17, first 2 shown]
	v_add_f64 v[22:23], v[58:59], -v[22:23]
	v_add_f64 v[4:5], v[4:5], v[24:25]
	v_add_f64 v[28:29], v[50:51], v[24:25]
	v_add_f64 v[24:25], v[50:51], -v[24:25]
	v_mul_f64 v[94:95], v[22:23], s[30:31]
	v_mul_f64 v[34:35], v[24:25], s[46:47]
	;; [unrolled: 1-line block ×6, first 2 shown]
	v_fma_f64 v[134:135], s[24:25], v[28:29], v[94:95]
	v_fma_f64 v[136:137], v[28:29], s[24:25], -v[94:95]
	v_mul_f64 v[94:95], v[22:23], s[34:35]
	v_mul_f64 v[30:31], v[24:25], s[40:41]
	v_fma_f64 v[36:37], v[26:27], s[20:21], -v[34:35]
	v_fmac_f64_e32 v[34:35], s[20:21], v[26:27]
	v_fma_f64 v[40:41], v[26:27], s[18:19], -v[38:39]
	v_mul_f64 v[46:47], v[24:25], s[42:43]
	v_fma_f64 v[54:55], v[26:27], s[24:25], -v[50:51]
	v_fmac_f64_e32 v[50:51], s[24:25], v[26:27]
	v_fma_f64 v[58:59], v[26:27], s[26:27], -v[56:57]
	v_mul_f64 v[62:63], v[24:25], s[36:37]
	v_mul_f64 v[122:123], v[24:25], s[44:45]
	;; [unrolled: 1-line block ×5, first 2 shown]
	v_fma_f64 v[88:89], s[16:17], v[28:29], v[86:87]
	v_fma_f64 v[138:139], s[26:27], v[28:29], v[94:95]
	v_fma_f64 v[140:141], v[28:29], s[26:27], -v[94:95]
	v_mul_f64 v[94:95], v[22:23], s[36:37]
	v_mul_f64 v[22:23], v[22:23], s[44:45]
	v_fma_f64 v[32:33], v[26:27], s[22:23], -v[30:31]
	v_fmac_f64_e32 v[30:31], s[22:23], v[26:27]
	v_fmac_f64_e32 v[38:39], s[18:19], v[26:27]
	v_fma_f64 v[48:49], v[26:27], s[16:17], -v[46:47]
	v_fmac_f64_e32 v[46:47], s[16:17], v[26:27]
	v_fmac_f64_e32 v[56:57], s[26:27], v[26:27]
	v_fma_f64 v[64:65], v[26:27], s[28:29], -v[62:63]
	v_fmac_f64_e32 v[62:63], s[28:29], v[26:27]
	v_fma_f64 v[124:125], v[26:27], s[38:39], -v[122:123]
	v_fmac_f64_e32 v[122:123], s[38:39], v[26:27]
	v_fma_f64 v[26:27], s[22:23], v[28:29], v[24:25]
	v_fma_f64 v[24:25], v[28:29], s[22:23], -v[24:25]
	v_fma_f64 v[72:73], s[20:21], v[28:29], v[70:71]
	v_fma_f64 v[70:71], v[28:29], s[20:21], -v[70:71]
	;; [unrolled: 2-line block ×3, first 2 shown]
	v_fma_f64 v[86:87], v[28:29], s[16:17], -v[86:87]
	v_fma_f64 v[142:143], s[28:29], v[28:29], v[94:95]
	v_fma_f64 v[144:145], v[28:29], s[28:29], -v[94:95]
	v_fma_f64 v[146:147], s[38:39], v[28:29], v[22:23]
	v_fma_f64 v[148:149], v[28:29], s[38:39], -v[22:23]
	v_add_f64 v[120:121], v[42:43], v[34:35]
	v_add_f64 v[28:29], v[42:43], v[40:41]
	;; [unrolled: 1-line block ×6, first 2 shown]
	v_add_f64 v[58:59], v[52:53], -v[66:67]
	v_add_f64 v[52:53], v[60:61], v[118:119]
	v_add_f64 v[60:61], v[60:61], -v[118:119]
	v_add_f64 v[150:151], v[42:43], v[32:33]
	v_add_f64 v[152:153], v[44:45], v[26:27]
	;; [unrolled: 1-line block ×16, first 2 shown]
	v_mul_f64 v[42:43], v[60:61], s[46:47]
	v_add_f64 v[116:117], v[44:45], v[70:71]
	v_add_f64 v[22:23], v[44:45], v[78:79]
	;; [unrolled: 1-line block ×11, first 2 shown]
	v_fma_f64 v[44:45], v[50:51], s[20:21], -v[42:43]
	v_add_f64 v[118:119], v[44:45], v[150:151]
	v_mul_f64 v[44:45], v[58:59], s[46:47]
	v_fma_f64 v[66:67], s[20:21], v[52:53], v[44:45]
	v_add_f64 v[122:123], v[66:67], v[152:153]
	v_add_f64 v[66:67], v[68:69], v[74:75]
	v_add_f64 v[74:75], v[68:69], -v[74:75]
	v_add_f64 v[68:69], v[76:77], v[82:83]
	v_add_f64 v[76:77], v[76:77], -v[82:83]
	v_mul_f64 v[142:143], v[76:77], s[52:53]
	v_fma_f64 v[82:83], v[66:67], s[18:19], -v[142:143]
	v_mul_f64 v[144:145], v[74:75], s[52:53]
	v_add_f64 v[118:119], v[82:83], v[118:119]
	v_fma_f64 v[82:83], s[18:19], v[68:69], v[144:145]
	v_add_f64 v[122:123], v[82:83], v[122:123]
	v_add_f64 v[82:83], v[84:85], v[90:91]
	v_add_f64 v[90:91], v[84:85], -v[90:91]
	v_add_f64 v[84:85], v[92:93], v[98:99]
	v_add_f64 v[92:93], v[92:93], -v[98:99]
	v_mul_f64 v[146:147], v[92:93], s[42:43]
	v_fma_f64 v[98:99], v[82:83], s[16:17], -v[146:147]
	v_mul_f64 v[148:149], v[90:91], s[42:43]
	v_add_f64 v[118:119], v[98:99], v[118:119]
	;; [unrolled: 10-line block ×4, first 2 shown]
	v_fma_f64 v[114:115], s[26:27], v[108:109], v[156:157]
	v_add_f64 v[136:137], v[114:115], v[122:123]
	v_add_f64 v[122:123], v[16:17], -v[20:21]
	v_add_f64 v[124:125], v[14:15], -v[18:19]
	v_add_f64 v[114:115], v[16:17], v[20:21]
	v_add_f64 v[118:119], v[14:15], v[18:19]
	v_mul_f64 v[14:15], v[124:125], s[36:37]
	v_mul_f64 v[18:19], v[122:123], s[36:37]
	v_fma_f64 v[16:17], v[114:115], s[28:29], -v[14:15]
	v_fma_f64 v[20:21], s[28:29], v[118:119], v[18:19]
	v_add_f64 v[140:141], v[6:7], -v[10:11]
	v_add_f64 v[16:17], v[16:17], v[134:135]
	v_add_f64 v[20:21], v[20:21], v[136:137]
	;; [unrolled: 1-line block ×4, first 2 shown]
	v_mul_f64 v[6:7], v[140:141], s[44:45]
	v_add_f64 v[138:139], v[8:9], -v[12:13]
	v_fma_f64 v[8:9], v[136:137], s[38:39], -v[6:7]
	v_add_f64 v[10:11], v[8:9], v[16:17]
	v_mul_f64 v[8:9], v[138:139], s[44:45]
	v_fma_f64 v[12:13], s[38:39], v[134:135], v[8:9]
	v_fmac_f64_e32 v[42:43], s[20:21], v[50:51]
	v_add_f64 v[12:13], v[12:13], v[20:21]
	v_add_f64 v[16:17], v[42:43], v[132:133]
	v_fma_f64 v[20:21], v[52:53], s[20:21], -v[44:45]
	v_fmac_f64_e32 v[142:143], s[18:19], v[66:67]
	v_add_f64 v[20:21], v[20:21], v[130:131]
	v_add_f64 v[16:17], v[142:143], v[16:17]
	v_fma_f64 v[42:43], v[68:69], s[18:19], -v[144:145]
	;; [unrolled: 4-line block ×7, first 2 shown]
	v_mul_f64 v[14:15], v[60:61], s[42:43]
	v_mul_f64 v[42:43], v[58:59], s[42:43]
	v_add_f64 v[8:9], v[8:9], v[16:17]
	v_fma_f64 v[16:17], v[50:51], s[16:17], -v[14:15]
	v_fma_f64 v[18:19], s[16:17], v[52:53], v[42:43]
	v_mul_f64 v[44:45], v[76:77], s[34:35]
	v_add_f64 v[16:17], v[16:17], v[128:129]
	v_add_f64 v[18:19], v[18:19], v[126:127]
	v_fma_f64 v[20:21], v[66:67], s[26:27], -v[44:45]
	v_mul_f64 v[126:127], v[74:75], s[34:35]
	v_add_f64 v[16:17], v[20:21], v[16:17]
	v_fma_f64 v[20:21], s[26:27], v[68:69], v[126:127]
	v_mul_f64 v[128:129], v[92:93], s[44:45]
	v_add_f64 v[18:19], v[20:21], v[18:19]
	v_fma_f64 v[20:21], v[82:83], s[38:39], -v[128:129]
	v_mul_f64 v[130:131], v[90:91], s[44:45]
	v_add_f64 v[16:17], v[20:21], v[16:17]
	v_fma_f64 v[20:21], s[38:39], v[84:85], v[130:131]
	v_mul_f64 v[132:133], v[104:105], s[60:61]
	;; [unrolled: 6-line block ×3, first 2 shown]
	v_fmac_f64_e32 v[14:15], s[16:17], v[50:51]
	v_add_f64 v[18:19], v[20:21], v[18:19]
	v_fma_f64 v[20:21], v[106:107], s[24:25], -v[144:145]
	v_mul_f64 v[146:147], v[110:111], s[56:57]
	v_add_f64 v[14:15], v[14:15], v[120:121]
	v_fma_f64 v[42:43], v[52:53], s[16:17], -v[42:43]
	v_fmac_f64_e32 v[44:45], s[26:27], v[66:67]
	v_add_f64 v[16:17], v[20:21], v[16:17]
	v_fma_f64 v[20:21], s[24:25], v[108:109], v[146:147]
	v_mul_f64 v[148:149], v[124:125], s[48:49]
	v_add_f64 v[42:43], v[42:43], v[116:117]
	v_add_f64 v[14:15], v[44:45], v[14:15]
	v_fma_f64 v[44:45], v[68:69], s[26:27], -v[126:127]
	v_add_f64 v[18:19], v[20:21], v[18:19]
	v_fma_f64 v[20:21], v[114:115], s[18:19], -v[148:149]
	v_mul_f64 v[150:151], v[122:123], s[48:49]
	v_add_f64 v[42:43], v[44:45], v[42:43]
	v_fma_f64 v[44:45], v[84:85], s[38:39], -v[130:131]
	v_add_f64 v[16:17], v[20:21], v[16:17]
	v_fma_f64 v[20:21], s[18:19], v[118:119], v[150:151]
	v_mul_f64 v[152:153], v[140:141], s[50:51]
	v_add_f64 v[42:43], v[44:45], v[42:43]
	v_fma_f64 v[44:45], v[100:101], s[28:29], -v[142:143]
	v_add_f64 v[20:21], v[20:21], v[18:19]
	v_fma_f64 v[18:19], v[136:137], s[22:23], -v[152:153]
	;; [unrolled: 2-line block ×3, first 2 shown]
	v_add_f64 v[18:19], v[18:19], v[16:17]
	v_mul_f64 v[16:17], v[138:139], s[50:51]
	v_add_f64 v[42:43], v[44:45], v[42:43]
	v_fma_f64 v[44:45], v[118:119], s[18:19], -v[150:151]
	v_fma_f64 v[154:155], s[22:23], v[134:135], v[16:17]
	v_add_f64 v[42:43], v[44:45], v[42:43]
	v_fma_f64 v[16:17], v[134:135], s[22:23], -v[16:17]
	v_add_f64 v[16:17], v[16:17], v[42:43]
	v_mul_f64 v[42:43], v[60:61], s[34:35]
	v_fma_f64 v[44:45], v[50:51], s[26:27], -v[42:43]
	v_add_f64 v[28:29], v[44:45], v[28:29]
	v_mul_f64 v[44:45], v[58:59], s[34:35]
	v_fma_f64 v[116:117], s[26:27], v[52:53], v[44:45]
	v_add_f64 v[26:27], v[116:117], v[26:27]
	v_mul_f64 v[116:117], v[76:77], s[64:65]
	v_fma_f64 v[120:121], v[66:67], s[38:39], -v[116:117]
	v_add_f64 v[28:29], v[120:121], v[28:29]
	v_mul_f64 v[120:121], v[74:75], s[64:65]
	v_fma_f64 v[126:127], s[38:39], v[68:69], v[120:121]
	v_fmac_f64_e32 v[128:129], s[38:39], v[82:83]
	v_add_f64 v[26:27], v[126:127], v[26:27]
	v_mul_f64 v[126:127], v[92:93], s[56:57]
	v_add_f64 v[14:15], v[128:129], v[14:15]
	v_fma_f64 v[128:129], v[82:83], s[24:25], -v[126:127]
	v_add_f64 v[28:29], v[128:129], v[28:29]
	v_mul_f64 v[128:129], v[90:91], s[56:57]
	v_fma_f64 v[130:131], s[24:25], v[84:85], v[128:129]
	v_fmac_f64_e32 v[132:133], s[28:29], v[98:99]
	v_add_f64 v[26:27], v[130:131], v[26:27]
	v_mul_f64 v[130:131], v[104:105], s[54:55]
	v_add_f64 v[14:15], v[132:133], v[14:15]
	;; [unrolled: 8-line block ×3, first 2 shown]
	v_fma_f64 v[144:145], v[106:107], s[22:23], -v[142:143]
	v_add_f64 v[28:29], v[144:145], v[28:29]
	v_mul_f64 v[144:145], v[110:111], s[40:41]
	v_fmac_f64_e32 v[42:43], s[26:27], v[50:51]
	v_fma_f64 v[146:147], s[22:23], v[108:109], v[144:145]
	v_add_f64 v[24:25], v[42:43], v[24:25]
	v_fma_f64 v[42:43], v[52:53], s[26:27], -v[44:45]
	v_fmac_f64_e32 v[116:117], s[38:39], v[66:67]
	v_fmac_f64_e32 v[148:149], s[18:19], v[114:115]
	v_add_f64 v[26:27], v[146:147], v[26:27]
	v_mul_f64 v[146:147], v[124:125], s[42:43]
	v_add_f64 v[22:23], v[42:43], v[22:23]
	v_add_f64 v[24:25], v[116:117], v[24:25]
	v_fma_f64 v[42:43], v[68:69], s[38:39], -v[120:121]
	v_fmac_f64_e32 v[126:127], s[24:25], v[82:83]
	v_add_f64 v[14:15], v[148:149], v[14:15]
	v_fma_f64 v[148:149], v[114:115], s[16:17], -v[146:147]
	v_add_f64 v[22:23], v[42:43], v[22:23]
	v_add_f64 v[24:25], v[126:127], v[24:25]
	v_fma_f64 v[42:43], v[84:85], s[24:25], -v[128:129]
	v_fmac_f64_e32 v[130:131], s[20:21], v[98:99]
	v_fmac_f64_e32 v[152:153], s[22:23], v[136:137]
	v_add_f64 v[28:29], v[148:149], v[28:29]
	v_mul_f64 v[148:149], v[122:123], s[42:43]
	v_add_f64 v[22:23], v[42:43], v[22:23]
	v_add_f64 v[24:25], v[130:131], v[24:25]
	v_fma_f64 v[42:43], v[100:101], s[20:21], -v[132:133]
	v_fmac_f64_e32 v[142:143], s[22:23], v[106:107]
	v_add_f64 v[14:15], v[152:153], v[14:15]
	v_fma_f64 v[150:151], s[16:17], v[118:119], v[148:149]
	v_mul_f64 v[152:153], v[140:141], s[36:37]
	v_add_f64 v[22:23], v[42:43], v[22:23]
	v_add_f64 v[24:25], v[142:143], v[24:25]
	v_fma_f64 v[42:43], v[108:109], s[22:23], -v[144:145]
	v_fmac_f64_e32 v[146:147], s[16:17], v[114:115]
	v_add_f64 v[20:21], v[154:155], v[20:21]
	v_add_f64 v[150:151], v[150:151], v[26:27]
	v_fma_f64 v[26:27], v[136:137], s[28:29], -v[152:153]
	v_mul_f64 v[154:155], v[138:139], s[36:37]
	v_add_f64 v[22:23], v[42:43], v[22:23]
	v_add_f64 v[24:25], v[146:147], v[24:25]
	v_fma_f64 v[42:43], v[118:119], s[16:17], -v[148:149]
	v_fmac_f64_e32 v[152:153], s[28:29], v[136:137]
	v_add_f64 v[42:43], v[42:43], v[22:23]
	v_add_f64 v[22:23], v[152:153], v[24:25]
	v_fma_f64 v[24:25], v[134:135], s[28:29], -v[154:155]
	v_add_f64 v[24:25], v[24:25], v[42:43]
	v_mul_f64 v[42:43], v[60:61], s[44:45]
	v_fma_f64 v[44:45], v[50:51], s[38:39], -v[42:43]
	v_add_f64 v[36:37], v[44:45], v[36:37]
	v_mul_f64 v[44:45], v[58:59], s[44:45]
	v_fma_f64 v[116:117], s[38:39], v[52:53], v[44:45]
	v_add_f64 v[34:35], v[116:117], v[34:35]
	v_mul_f64 v[116:117], v[76:77], s[56:57]
	v_fma_f64 v[120:121], v[66:67], s[24:25], -v[116:117]
	v_add_f64 v[36:37], v[120:121], v[36:37]
	v_mul_f64 v[120:121], v[74:75], s[56:57]
	v_fma_f64 v[126:127], s[24:25], v[68:69], v[120:121]
	;; [unrolled: 6-line block ×4, first 2 shown]
	v_add_f64 v[34:35], v[142:143], v[34:35]
	v_mul_f64 v[142:143], v[112:113], s[36:37]
	v_fma_f64 v[144:145], v[106:107], s[28:29], -v[142:143]
	v_add_f64 v[36:37], v[144:145], v[36:37]
	v_mul_f64 v[144:145], v[110:111], s[36:37]
	v_fmac_f64_e32 v[42:43], s[38:39], v[50:51]
	v_fma_f64 v[146:147], s[28:29], v[108:109], v[144:145]
	v_add_f64 v[32:33], v[42:43], v[32:33]
	v_fma_f64 v[42:43], v[52:53], s[38:39], -v[44:45]
	v_fmac_f64_e32 v[116:117], s[24:25], v[66:67]
	v_add_f64 v[34:35], v[146:147], v[34:35]
	v_mul_f64 v[146:147], v[124:125], s[62:63]
	v_add_f64 v[30:31], v[42:43], v[30:31]
	v_add_f64 v[32:33], v[116:117], v[32:33]
	v_fma_f64 v[42:43], v[68:69], s[24:25], -v[120:121]
	v_fmac_f64_e32 v[126:127], s[22:23], v[82:83]
	v_fma_f64 v[148:149], v[114:115], s[26:27], -v[146:147]
	v_add_f64 v[30:31], v[42:43], v[30:31]
	v_add_f64 v[32:33], v[126:127], v[32:33]
	v_fma_f64 v[42:43], v[84:85], s[22:23], -v[128:129]
	v_fmac_f64_e32 v[130:131], s[18:19], v[98:99]
	v_add_f64 v[26:27], v[26:27], v[28:29]
	v_fma_f64 v[28:29], s[28:29], v[134:135], v[154:155]
	v_add_f64 v[36:37], v[148:149], v[36:37]
	v_mul_f64 v[148:149], v[122:123], s[62:63]
	v_add_f64 v[30:31], v[42:43], v[30:31]
	v_add_f64 v[32:33], v[130:131], v[32:33]
	v_fma_f64 v[42:43], v[100:101], s[18:19], -v[132:133]
	v_fmac_f64_e32 v[142:143], s[28:29], v[106:107]
	v_add_f64 v[28:29], v[28:29], v[150:151]
	v_fma_f64 v[150:151], s[26:27], v[118:119], v[148:149]
	v_mul_f64 v[152:153], v[140:141], s[54:55]
	v_add_f64 v[30:31], v[42:43], v[30:31]
	v_add_f64 v[32:33], v[142:143], v[32:33]
	v_fma_f64 v[42:43], v[108:109], s[28:29], -v[144:145]
	v_fmac_f64_e32 v[146:147], s[26:27], v[114:115]
	v_add_f64 v[150:151], v[150:151], v[34:35]
	v_fma_f64 v[34:35], v[136:137], s[20:21], -v[152:153]
	v_mul_f64 v[154:155], v[138:139], s[54:55]
	v_add_f64 v[30:31], v[42:43], v[30:31]
	v_add_f64 v[32:33], v[146:147], v[32:33]
	v_fma_f64 v[42:43], v[118:119], s[26:27], -v[148:149]
	v_fmac_f64_e32 v[152:153], s[20:21], v[136:137]
	v_add_f64 v[42:43], v[42:43], v[30:31]
	v_add_f64 v[30:31], v[152:153], v[32:33]
	v_fma_f64 v[32:33], v[134:135], s[20:21], -v[154:155]
	v_mul_f64 v[116:117], v[60:61], s[60:61]
	v_add_f64 v[32:33], v[32:33], v[42:43]
	v_fma_f64 v[42:43], v[50:51], s[28:29], -v[116:117]
	v_add_f64 v[42:43], v[42:43], v[96:97]
	v_mul_f64 v[96:97], v[58:59], s[60:61]
	v_fma_f64 v[44:45], s[28:29], v[52:53], v[96:97]
	v_add_f64 v[44:45], v[44:45], v[94:95]
	v_mul_f64 v[94:95], v[76:77], s[54:55]
	v_fma_f64 v[120:121], v[66:67], s[20:21], -v[94:95]
	v_add_f64 v[42:43], v[120:121], v[42:43]
	v_mul_f64 v[120:121], v[74:75], s[54:55]
	v_fma_f64 v[126:127], s[20:21], v[68:69], v[120:121]
	v_add_f64 v[44:45], v[126:127], v[44:45]
	v_mul_f64 v[126:127], v[92:93], s[52:53]
	;; [unrolled: 6-line block ×5, first 2 shown]
	v_fmac_f64_e32 v[116:117], s[28:29], v[50:51]
	v_fma_f64 v[148:149], v[114:115], s[22:23], -v[146:147]
	v_add_f64 v[40:41], v[116:117], v[40:41]
	v_fma_f64 v[96:97], v[52:53], s[28:29], -v[96:97]
	v_fmac_f64_e32 v[94:95], s[20:21], v[66:67]
	v_add_f64 v[34:35], v[34:35], v[36:37]
	v_fma_f64 v[36:37], s[20:21], v[134:135], v[154:155]
	v_add_f64 v[42:43], v[148:149], v[42:43]
	v_mul_f64 v[148:149], v[122:123], s[40:41]
	v_add_f64 v[38:39], v[96:97], v[38:39]
	v_add_f64 v[40:41], v[94:95], v[40:41]
	v_fma_f64 v[94:95], v[68:69], s[20:21], -v[120:121]
	v_fmac_f64_e32 v[126:127], s[18:19], v[82:83]
	v_add_f64 v[36:37], v[36:37], v[150:151]
	v_fma_f64 v[150:151], s[22:23], v[118:119], v[148:149]
	v_add_f64 v[38:39], v[94:95], v[38:39]
	v_add_f64 v[40:41], v[126:127], v[40:41]
	v_fma_f64 v[94:95], v[84:85], s[18:19], -v[128:129]
	v_fmac_f64_e32 v[130:131], s[38:39], v[98:99]
	v_add_f64 v[44:45], v[150:151], v[44:45]
	v_mul_f64 v[150:151], v[140:141], s[34:35]
	v_add_f64 v[38:39], v[94:95], v[38:39]
	v_add_f64 v[40:41], v[130:131], v[40:41]
	v_fma_f64 v[94:95], v[100:101], s[38:39], -v[132:133]
	v_fmac_f64_e32 v[142:143], s[16:17], v[106:107]
	v_fma_f64 v[152:153], v[136:137], s[26:27], -v[150:151]
	v_add_f64 v[38:39], v[94:95], v[38:39]
	v_add_f64 v[40:41], v[142:143], v[40:41]
	v_fma_f64 v[94:95], v[108:109], s[16:17], -v[144:145]
	v_fmac_f64_e32 v[146:147], s[22:23], v[114:115]
	v_add_f64 v[42:43], v[152:153], v[42:43]
	v_mul_f64 v[152:153], v[138:139], s[34:35]
	v_add_f64 v[38:39], v[94:95], v[38:39]
	v_add_f64 v[40:41], v[146:147], v[40:41]
	v_fma_f64 v[94:95], v[118:119], s[22:23], -v[148:149]
	v_fmac_f64_e32 v[150:151], s[26:27], v[136:137]
	v_add_f64 v[94:95], v[94:95], v[38:39]
	v_add_f64 v[38:39], v[150:151], v[40:41]
	v_fma_f64 v[40:41], v[134:135], s[26:27], -v[152:153]
	v_add_f64 v[40:41], v[40:41], v[94:95]
	v_mul_f64 v[94:95], v[60:61], s[56:57]
	v_fma_f64 v[96:97], v[50:51], s[24:25], -v[94:95]
	v_add_f64 v[88:89], v[96:97], v[88:89]
	v_mul_f64 v[96:97], v[58:59], s[56:57]
	v_fma_f64 v[116:117], s[24:25], v[52:53], v[96:97]
	v_add_f64 v[86:87], v[116:117], v[86:87]
	v_mul_f64 v[116:117], v[76:77], s[40:41]
	v_fma_f64 v[120:121], v[66:67], s[22:23], -v[116:117]
	v_add_f64 v[88:89], v[120:121], v[88:89]
	v_mul_f64 v[120:121], v[74:75], s[40:41]
	v_fma_f64 v[126:127], s[22:23], v[68:69], v[120:121]
	;; [unrolled: 6-line block ×4, first 2 shown]
	v_add_f64 v[86:87], v[142:143], v[86:87]
	v_mul_f64 v[142:143], v[112:113], s[46:47]
	v_fma_f64 v[144:145], v[106:107], s[20:21], -v[142:143]
	v_add_f64 v[88:89], v[144:145], v[88:89]
	v_mul_f64 v[144:145], v[110:111], s[46:47]
	v_fmac_f64_e32 v[94:95], s[24:25], v[50:51]
	v_fma_f64 v[146:147], s[20:21], v[108:109], v[144:145]
	v_add_f64 v[80:81], v[94:95], v[80:81]
	v_fma_f64 v[94:95], v[52:53], s[24:25], -v[96:97]
	v_fmac_f64_e32 v[116:117], s[22:23], v[66:67]
	v_add_f64 v[86:87], v[146:147], v[86:87]
	v_mul_f64 v[146:147], v[124:125], s[44:45]
	v_add_f64 v[78:79], v[94:95], v[78:79]
	v_add_f64 v[80:81], v[116:117], v[80:81]
	v_fma_f64 v[94:95], v[68:69], s[22:23], -v[120:121]
	v_fmac_f64_e32 v[126:127], s[28:29], v[82:83]
	v_fma_f64 v[148:149], v[114:115], s[38:39], -v[146:147]
	v_add_f64 v[78:79], v[94:95], v[78:79]
	v_add_f64 v[80:81], v[126:127], v[80:81]
	v_fma_f64 v[94:95], v[84:85], s[28:29], -v[128:129]
	v_fmac_f64_e32 v[130:131], s[16:17], v[98:99]
	v_add_f64 v[88:89], v[148:149], v[88:89]
	v_mul_f64 v[148:149], v[122:123], s[44:45]
	v_add_f64 v[78:79], v[94:95], v[78:79]
	v_add_f64 v[80:81], v[130:131], v[80:81]
	v_fma_f64 v[94:95], v[100:101], s[16:17], -v[132:133]
	v_fmac_f64_e32 v[142:143], s[20:21], v[106:107]
	v_fma_f64 v[154:155], s[26:27], v[134:135], v[152:153]
	v_fma_f64 v[150:151], s[38:39], v[118:119], v[148:149]
	v_mul_f64 v[152:153], v[140:141], s[48:49]
	v_add_f64 v[78:79], v[94:95], v[78:79]
	v_add_f64 v[80:81], v[142:143], v[80:81]
	v_fma_f64 v[94:95], v[108:109], s[20:21], -v[144:145]
	v_fmac_f64_e32 v[146:147], s[38:39], v[114:115]
	v_add_f64 v[44:45], v[154:155], v[44:45]
	v_add_f64 v[150:151], v[150:151], v[86:87]
	v_fma_f64 v[86:87], v[136:137], s[18:19], -v[152:153]
	v_mul_f64 v[154:155], v[138:139], s[48:49]
	v_add_f64 v[78:79], v[94:95], v[78:79]
	v_add_f64 v[80:81], v[146:147], v[80:81]
	v_fma_f64 v[94:95], v[118:119], s[38:39], -v[148:149]
	v_fmac_f64_e32 v[152:153], s[18:19], v[136:137]
	v_add_f64 v[94:95], v[94:95], v[78:79]
	v_add_f64 v[78:79], v[152:153], v[80:81]
	v_fma_f64 v[80:81], v[134:135], s[18:19], -v[154:155]
	v_add_f64 v[80:81], v[80:81], v[94:95]
	v_mul_f64 v[94:95], v[60:61], s[48:49]
	v_fma_f64 v[96:97], v[50:51], s[18:19], -v[94:95]
	v_add_f64 v[72:73], v[96:97], v[72:73]
	v_mul_f64 v[96:97], v[58:59], s[48:49]
	v_fma_f64 v[116:117], s[18:19], v[52:53], v[96:97]
	v_add_f64 v[70:71], v[116:117], v[70:71]
	v_mul_f64 v[116:117], v[76:77], s[42:43]
	v_fma_f64 v[120:121], v[66:67], s[16:17], -v[116:117]
	v_add_f64 v[72:73], v[120:121], v[72:73]
	v_mul_f64 v[120:121], v[74:75], s[42:43]
	v_fma_f64 v[126:127], s[16:17], v[68:69], v[120:121]
	;; [unrolled: 6-line block ×4, first 2 shown]
	v_add_f64 v[70:71], v[142:143], v[70:71]
	v_mul_f64 v[142:143], v[112:113], s[44:45]
	v_fma_f64 v[144:145], v[106:107], s[38:39], -v[142:143]
	v_add_f64 v[72:73], v[144:145], v[72:73]
	v_mul_f64 v[144:145], v[110:111], s[44:45]
	v_fmac_f64_e32 v[94:95], s[18:19], v[50:51]
	v_fma_f64 v[146:147], s[38:39], v[108:109], v[144:145]
	v_add_f64 v[64:65], v[94:95], v[64:65]
	v_fma_f64 v[94:95], v[52:53], s[18:19], -v[96:97]
	v_fmac_f64_e32 v[116:117], s[16:17], v[66:67]
	v_add_f64 v[70:71], v[146:147], v[70:71]
	v_mul_f64 v[146:147], v[124:125], s[54:55]
	v_add_f64 v[62:63], v[94:95], v[62:63]
	v_add_f64 v[64:65], v[116:117], v[64:65]
	v_fma_f64 v[94:95], v[68:69], s[16:17], -v[120:121]
	v_fmac_f64_e32 v[126:127], s[26:27], v[82:83]
	v_fma_f64 v[148:149], v[114:115], s[20:21], -v[146:147]
	v_add_f64 v[62:63], v[94:95], v[62:63]
	v_add_f64 v[64:65], v[126:127], v[64:65]
	v_fma_f64 v[94:95], v[84:85], s[26:27], -v[128:129]
	v_fmac_f64_e32 v[130:131], s[22:23], v[98:99]
	v_add_f64 v[86:87], v[86:87], v[88:89]
	v_fma_f64 v[88:89], s[18:19], v[134:135], v[154:155]
	v_add_f64 v[72:73], v[148:149], v[72:73]
	v_mul_f64 v[148:149], v[122:123], s[54:55]
	v_add_f64 v[62:63], v[94:95], v[62:63]
	v_add_f64 v[64:65], v[130:131], v[64:65]
	v_fma_f64 v[94:95], v[100:101], s[22:23], -v[132:133]
	v_fmac_f64_e32 v[142:143], s[38:39], v[106:107]
	v_add_f64 v[88:89], v[88:89], v[150:151]
	v_fma_f64 v[150:151], s[20:21], v[118:119], v[148:149]
	v_mul_f64 v[152:153], v[140:141], s[30:31]
	v_add_f64 v[62:63], v[94:95], v[62:63]
	v_add_f64 v[64:65], v[142:143], v[64:65]
	v_fma_f64 v[94:95], v[108:109], s[38:39], -v[144:145]
	v_fmac_f64_e32 v[146:147], s[20:21], v[114:115]
	v_add_f64 v[150:151], v[150:151], v[70:71]
	v_fma_f64 v[70:71], v[136:137], s[24:25], -v[152:153]
	v_mul_f64 v[154:155], v[138:139], s[30:31]
	v_add_f64 v[62:63], v[94:95], v[62:63]
	v_add_f64 v[64:65], v[146:147], v[64:65]
	v_fma_f64 v[94:95], v[118:119], s[20:21], -v[148:149]
	v_fmac_f64_e32 v[152:153], s[24:25], v[136:137]
	v_add_f64 v[94:95], v[94:95], v[62:63]
	v_add_f64 v[62:63], v[152:153], v[64:65]
	v_fma_f64 v[64:65], v[134:135], s[24:25], -v[154:155]
	v_mul_f64 v[60:61], v[60:61], s[50:51]
	v_add_f64 v[64:65], v[64:65], v[94:95]
	v_fma_f64 v[94:95], v[50:51], s[22:23], -v[60:61]
	v_mul_f64 v[58:59], v[58:59], s[50:51]
	v_add_f64 v[56:57], v[94:95], v[56:57]
	v_fma_f64 v[94:95], s[22:23], v[52:53], v[58:59]
	v_mul_f64 v[76:77], v[76:77], s[36:37]
	v_add_f64 v[54:55], v[94:95], v[54:55]
	v_fma_f64 v[94:95], v[66:67], s[28:29], -v[76:77]
	v_mul_f64 v[74:75], v[74:75], s[36:37]
	v_add_f64 v[56:57], v[94:95], v[56:57]
	v_fma_f64 v[94:95], s[28:29], v[68:69], v[74:75]
	;; [unrolled: 6-line block ×3, first 2 shown]
	v_add_f64 v[54:55], v[94:95], v[54:55]
	v_mul_f64 v[94:95], v[104:105], s[34:35]
	v_fma_f64 v[96:97], v[98:99], s[26:27], -v[94:95]
	v_add_f64 v[56:57], v[96:97], v[56:57]
	v_mul_f64 v[96:97], v[102:103], s[34:35]
	v_fma_f64 v[102:103], s[26:27], v[100:101], v[96:97]
	v_add_f64 v[54:55], v[102:103], v[54:55]
	v_mul_f64 v[102:103], v[112:113], s[48:49]
	v_fma_f64 v[104:105], v[106:107], s[18:19], -v[102:103]
	v_add_f64 v[56:57], v[104:105], v[56:57]
	v_mul_f64 v[104:105], v[110:111], s[48:49]
	v_fma_f64 v[110:111], s[18:19], v[108:109], v[104:105]
	v_fmac_f64_e32 v[60:61], s[22:23], v[50:51]
	v_fma_f64 v[50:51], v[52:53], s[22:23], -v[58:59]
	v_add_f64 v[54:55], v[110:111], v[54:55]
	v_mul_f64 v[110:111], v[124:125], s[30:31]
	v_add_f64 v[48:49], v[60:61], v[48:49]
	v_add_f64 v[46:47], v[50:51], v[46:47]
	v_fmac_f64_e32 v[76:77], s[28:29], v[66:67]
	v_fma_f64 v[50:51], v[68:69], s[28:29], -v[74:75]
	v_fma_f64 v[112:113], v[114:115], s[24:25], -v[110:111]
	v_add_f64 v[48:49], v[76:77], v[48:49]
	v_add_f64 v[46:47], v[50:51], v[46:47]
	v_fmac_f64_e32 v[92:93], s[20:21], v[82:83]
	v_fma_f64 v[50:51], v[84:85], s[20:21], -v[90:91]
	v_add_f64 v[56:57], v[112:113], v[56:57]
	v_mul_f64 v[112:113], v[122:123], s[30:31]
	v_add_f64 v[48:49], v[92:93], v[48:49]
	v_add_f64 v[46:47], v[50:51], v[46:47]
	v_fmac_f64_e32 v[94:95], s[26:27], v[98:99]
	v_fma_f64 v[50:51], v[100:101], s[26:27], -v[96:97]
	v_fma_f64 v[116:117], s[24:25], v[118:119], v[112:113]
	v_mul_f64 v[120:121], v[140:141], s[58:59]
	v_add_f64 v[48:49], v[94:95], v[48:49]
	v_add_f64 v[46:47], v[50:51], v[46:47]
	v_fmac_f64_e32 v[102:103], s[18:19], v[106:107]
	v_fma_f64 v[50:51], v[108:109], s[18:19], -v[104:105]
	v_add_f64 v[116:117], v[116:117], v[54:55]
	v_fma_f64 v[54:55], v[136:137], s[16:17], -v[120:121]
	v_mul_f64 v[122:123], v[138:139], s[58:59]
	v_add_f64 v[48:49], v[102:103], v[48:49]
	v_add_f64 v[46:47], v[50:51], v[46:47]
	v_fmac_f64_e32 v[110:111], s[24:25], v[114:115]
	v_fma_f64 v[50:51], v[118:119], s[24:25], -v[112:113]
	v_add_f64 v[70:71], v[70:71], v[72:73]
	v_fma_f64 v[72:73], s[24:25], v[134:135], v[154:155]
	v_add_f64 v[54:55], v[54:55], v[56:57]
	v_fma_f64 v[56:57], s[16:17], v[134:135], v[122:123]
	v_add_f64 v[48:49], v[110:111], v[48:49]
	v_add_f64 v[50:51], v[50:51], v[46:47]
	v_fmac_f64_e32 v[120:121], s[16:17], v[136:137]
	v_fma_f64 v[52:53], v[134:135], s[16:17], -v[122:123]
	v_add_f64 v[72:73], v[72:73], v[150:151]
	v_add_f64 v[56:57], v[56:57], v[116:117]
	;; [unrolled: 1-line block ×4, first 2 shown]
	s_barrier
	ds_write_b128 v1, v[2:5]
	ds_write_b128 v1, v[10:13] offset:272
	ds_write_b128 v1, v[18:21] offset:544
	;; [unrolled: 1-line block ×16, first 2 shown]
	v_mul_hi_u32 v1, v0, s3
	v_mul_u32_u24_e32 v2, 7, v1
	v_sub_u32_e32 v12, v0, v2
	s_waitcnt lgkmcnt(0)
	s_barrier
	s_cbranch_vccnz .LBB0_10
; %bb.7:
	v_mad_u64_u32 v[4:5], s[6:7], s8, v12, 0
	v_mov_b32_e32 v2, v5
	v_mad_u64_u32 v[2:3], s[6:7], s9, v12, v[2:3]
	v_mov_b32_e32 v5, v2
	v_mul_i32_i24_e32 v2, 0x1220, v12
	v_lshlrev_b32_e32 v3, 4, v1
	v_add3_u32 v2, 0, v2, v3
	s_lshl_b64 s[6:7], s[4:5], 4
	ds_read_b128 v[14:17], v2
	ds_read_b128 v[18:21], v2 offset:272
	s_add_u32 s6, s0, s6
	s_addc_u32 s7, s1, s7
	v_mul_lo_u32 v6, v1, s2
	v_mov_b32_e32 v7, 0
	v_lshl_add_u64 v[8:9], v[4:5], 4, s[6:7]
	v_lshl_add_u64 v[4:5], v[6:7], 4, v[8:9]
	s_waitcnt lgkmcnt(1)
	global_store_dwordx4 v[4:5], v[14:17], off
	ds_read_b128 v[14:17], v2 offset:544
	s_mul_i32 s3, s2, 17
	v_add_u32_e32 v6, s3, v6
	v_lshl_add_u64 v[4:5], v[6:7], 4, v[8:9]
	v_add_u32_e32 v6, s3, v6
	s_waitcnt lgkmcnt(1)
	global_store_dwordx4 v[4:5], v[18:21], off
	ds_read_b128 v[18:21], v2 offset:816
	v_lshl_add_u64 v[4:5], v[6:7], 4, v[8:9]
	s_waitcnt lgkmcnt(1)
	global_store_dwordx4 v[4:5], v[14:17], off
	ds_read_b128 v[14:17], v2 offset:1088
	v_add_u32_e32 v6, s3, v6
	v_lshl_add_u64 v[4:5], v[6:7], 4, v[8:9]
	v_add_u32_e32 v6, s3, v6
	s_waitcnt lgkmcnt(1)
	global_store_dwordx4 v[4:5], v[18:21], off
	ds_read_b128 v[18:21], v2 offset:1360
	v_lshl_add_u64 v[4:5], v[6:7], 4, v[8:9]
	s_waitcnt lgkmcnt(1)
	global_store_dwordx4 v[4:5], v[14:17], off
	ds_read_b128 v[14:17], v2 offset:1632
	;; [unrolled: 10-line block ×7, first 2 shown]
	v_add_u32_e32 v6, s3, v6
	v_lshl_add_u64 v[4:5], v[6:7], 4, v[8:9]
	v_add_u32_e32 v6, s3, v6
	s_waitcnt lgkmcnt(1)
	global_store_dwordx4 v[4:5], v[18:21], off
	v_lshl_add_u64 v[4:5], v[6:7], 4, v[8:9]
	v_cmp_gt_u32_e32 vcc, 7, v0
	s_mov_b64 s[10:11], 0
	s_mov_b64 s[6:7], 0
	s_waitcnt lgkmcnt(0)
	global_store_dwordx4 v[4:5], v[14:17], off
                                        ; implicit-def: $vgpr4_vgpr5
                                        ; implicit-def: $vgpr10_vgpr11
	s_and_saveexec_b64 s[14:15], vcc
	s_cbranch_execz .LBB0_9
; %bb.8:
	ds_read_b128 v[2:5], v2 offset:4624
	v_add_u32_e32 v6, s3, v6
	s_mov_b64 s[6:7], exec
	v_lshl_add_u64 v[10:11], v[6:7], 4, v[8:9]
	s_waitcnt lgkmcnt(0)
	global_store_dwordx2 v[10:11], v[2:3], off
.LBB0_9:
	s_or_b64 exec, exec, s[14:15]
	s_and_b64 vcc, exec, s[10:11]
	s_cbranch_vccnz .LBB0_11
	s_branch .LBB0_16
.LBB0_10:
	s_mov_b64 s[6:7], 0
                                        ; implicit-def: $vgpr4_vgpr5
                                        ; implicit-def: $vgpr10_vgpr11
	s_cbranch_execz .LBB0_16
.LBB0_11:
	v_add_u32_e32 v2, s13, v12
	v_cmp_gt_u32_e32 vcc, s12, v2
                                        ; implicit-def: $vgpr4_vgpr5
                                        ; implicit-def: $vgpr10_vgpr11
	s_and_saveexec_b64 s[10:11], vcc
	s_cbranch_execz .LBB0_15
; %bb.12:
	v_mad_u64_u32 v[4:5], s[14:15], s8, v12, 0
	v_mov_b32_e32 v2, v5
	v_mad_u64_u32 v[2:3], s[8:9], s9, v12, v[2:3]
	s_movk_i32 s3, 0x1220
	v_mov_b32_e32 v5, v2
	v_mad_i32_i24 v2, v12, s3, 0
	v_mul_lo_u32 v6, v1, s2
	v_lshl_add_u32 v1, v1, 4, v2
	s_lshl_b64 s[4:5], s[4:5], 4
	ds_read_b128 v[10:13], v1
	ds_read_b128 v[14:17], v1 offset:272
	s_add_u32 s0, s0, s4
	s_addc_u32 s1, s1, s5
	v_mov_b32_e32 v7, 0
	v_lshl_add_u64 v[8:9], v[4:5], 4, s[0:1]
	v_lshl_add_u64 v[4:5], v[6:7], 4, v[8:9]
	s_waitcnt lgkmcnt(1)
	global_store_dwordx4 v[4:5], v[10:13], off
	ds_read_b128 v[10:13], v1 offset:544
	s_mul_i32 s4, s2, 17
	v_add_u32_e32 v6, s4, v6
	v_lshl_add_u64 v[4:5], v[6:7], 4, v[8:9]
	v_add_u32_e32 v6, s4, v6
	s_waitcnt lgkmcnt(1)
	global_store_dwordx4 v[4:5], v[14:17], off
	ds_read_b128 v[14:17], v1 offset:816
	v_lshl_add_u64 v[4:5], v[6:7], 4, v[8:9]
	s_waitcnt lgkmcnt(1)
	global_store_dwordx4 v[4:5], v[10:13], off
	ds_read_b128 v[10:13], v1 offset:1088
	v_add_u32_e32 v6, s4, v6
	v_lshl_add_u64 v[4:5], v[6:7], 4, v[8:9]
	v_add_u32_e32 v6, s4, v6
	s_waitcnt lgkmcnt(1)
	global_store_dwordx4 v[4:5], v[14:17], off
	ds_read_b128 v[14:17], v1 offset:1360
	v_lshl_add_u64 v[4:5], v[6:7], 4, v[8:9]
	s_waitcnt lgkmcnt(1)
	global_store_dwordx4 v[4:5], v[10:13], off
	ds_read_b128 v[10:13], v1 offset:1632
	;; [unrolled: 10-line block ×6, first 2 shown]
	v_add_u32_e32 v6, s4, v6
	s_mul_hi_u32 s0, s12, 0x24924925
	v_lshl_add_u64 v[4:5], v[6:7], 4, v[8:9]
	v_add_u32_e32 v6, s4, v6
	s_sub_i32 s1, s12, s0
	s_waitcnt lgkmcnt(1)
	global_store_dwordx4 v[4:5], v[14:17], off
	ds_read_b128 v[14:17], v1 offset:4080
	v_lshl_add_u64 v[4:5], v[6:7], 4, v[8:9]
	s_lshr_b32 s1, s1, 1
	s_waitcnt lgkmcnt(1)
	global_store_dwordx4 v[4:5], v[10:13], off
	ds_read_b128 v[10:13], v1 offset:4352
	s_add_i32 s1, s1, s0
	s_lshr_b32 s0, s1, 2
	v_add_u32_e32 v6, s4, v6
	s_mul_i32 s0, s0, 7
	v_lshl_add_u64 v[4:5], v[6:7], 4, v[8:9]
	v_add_u32_e32 v6, s4, v6
	s_sub_i32 s0, s12, s0
	s_waitcnt lgkmcnt(1)
	global_store_dwordx4 v[4:5], v[14:17], off
	v_lshl_add_u64 v[4:5], v[6:7], 4, v[8:9]
	v_cmp_gt_u32_e32 vcc, s0, v0
	s_mov_b64 s[2:3], s[6:7]
	s_waitcnt lgkmcnt(0)
	global_store_dwordx4 v[4:5], v[10:13], off
                                        ; implicit-def: $vgpr4_vgpr5
                                        ; implicit-def: $vgpr10_vgpr11
	s_and_saveexec_b64 s[0:1], vcc
	s_cbranch_execz .LBB0_14
; %bb.13:
	ds_read_b128 v[2:5], v2 offset:4624
	v_add_u32_e32 v6, s4, v6
	v_lshl_add_u64 v[10:11], v[6:7], 4, v[8:9]
	s_or_b64 s[2:3], s[6:7], exec
	s_waitcnt lgkmcnt(0)
	global_store_dwordx2 v[10:11], v[2:3], off
.LBB0_14:
	s_or_b64 exec, exec, s[0:1]
	s_andn2_b64 s[0:1], s[6:7], exec
	s_and_b64 s[2:3], s[2:3], exec
	s_or_b64 s[6:7], s[0:1], s[2:3]
.LBB0_15:
	s_or_b64 exec, exec, s[10:11]
.LBB0_16:
	s_and_saveexec_b64 s[0:1], s[6:7]
	s_cbranch_execnz .LBB0_18
; %bb.17:
	s_endpgm
.LBB0_18:
	global_store_dwordx2 v[10:11], v[4:5], off offset:8
	s_endpgm
	.section	.rodata,"a",@progbits
	.p2align	6, 0x0
	.amdhsa_kernel fft_rtc_fwd_len289_factors_17_17_wgs_119_tpt_17_dp_op_CI_CI_sbrc_erc_z_xy_unaligned_dirReg
		.amdhsa_group_segment_fixed_size 0
		.amdhsa_private_segment_fixed_size 0
		.amdhsa_kernarg_size 104
		.amdhsa_user_sgpr_count 2
		.amdhsa_user_sgpr_dispatch_ptr 0
		.amdhsa_user_sgpr_queue_ptr 0
		.amdhsa_user_sgpr_kernarg_segment_ptr 1
		.amdhsa_user_sgpr_dispatch_id 0
		.amdhsa_user_sgpr_kernarg_preload_length 0
		.amdhsa_user_sgpr_kernarg_preload_offset 0
		.amdhsa_user_sgpr_private_segment_size 0
		.amdhsa_uses_dynamic_stack 0
		.amdhsa_enable_private_segment 0
		.amdhsa_system_sgpr_workgroup_id_x 1
		.amdhsa_system_sgpr_workgroup_id_y 0
		.amdhsa_system_sgpr_workgroup_id_z 0
		.amdhsa_system_sgpr_workgroup_info 0
		.amdhsa_system_vgpr_workitem_id 0
		.amdhsa_next_free_vgpr 160
		.amdhsa_next_free_sgpr 67
		.amdhsa_accum_offset 160
		.amdhsa_reserve_vcc 1
		.amdhsa_float_round_mode_32 0
		.amdhsa_float_round_mode_16_64 0
		.amdhsa_float_denorm_mode_32 3
		.amdhsa_float_denorm_mode_16_64 3
		.amdhsa_dx10_clamp 1
		.amdhsa_ieee_mode 1
		.amdhsa_fp16_overflow 0
		.amdhsa_tg_split 0
		.amdhsa_exception_fp_ieee_invalid_op 0
		.amdhsa_exception_fp_denorm_src 0
		.amdhsa_exception_fp_ieee_div_zero 0
		.amdhsa_exception_fp_ieee_overflow 0
		.amdhsa_exception_fp_ieee_underflow 0
		.amdhsa_exception_fp_ieee_inexact 0
		.amdhsa_exception_int_div_zero 0
	.end_amdhsa_kernel
	.text
.Lfunc_end0:
	.size	fft_rtc_fwd_len289_factors_17_17_wgs_119_tpt_17_dp_op_CI_CI_sbrc_erc_z_xy_unaligned_dirReg, .Lfunc_end0-fft_rtc_fwd_len289_factors_17_17_wgs_119_tpt_17_dp_op_CI_CI_sbrc_erc_z_xy_unaligned_dirReg
                                        ; -- End function
	.section	.AMDGPU.csdata,"",@progbits
; Kernel info:
; codeLenInByte = 16636
; NumSgprs: 73
; NumVgprs: 160
; NumAgprs: 0
; TotalNumVgprs: 160
; ScratchSize: 0
; MemoryBound: 0
; FloatMode: 240
; IeeeMode: 1
; LDSByteSize: 0 bytes/workgroup (compile time only)
; SGPRBlocks: 9
; VGPRBlocks: 19
; NumSGPRsForWavesPerEU: 73
; NumVGPRsForWavesPerEU: 160
; AccumOffset: 160
; Occupancy: 3
; WaveLimiterHint : 1
; COMPUTE_PGM_RSRC2:SCRATCH_EN: 0
; COMPUTE_PGM_RSRC2:USER_SGPR: 2
; COMPUTE_PGM_RSRC2:TRAP_HANDLER: 0
; COMPUTE_PGM_RSRC2:TGID_X_EN: 1
; COMPUTE_PGM_RSRC2:TGID_Y_EN: 0
; COMPUTE_PGM_RSRC2:TGID_Z_EN: 0
; COMPUTE_PGM_RSRC2:TIDIG_COMP_CNT: 0
; COMPUTE_PGM_RSRC3_GFX90A:ACCUM_OFFSET: 39
; COMPUTE_PGM_RSRC3_GFX90A:TG_SPLIT: 0
	.text
	.p2alignl 6, 3212836864
	.fill 256, 4, 3212836864
	.type	__hip_cuid_d2812549f02e7eb9,@object ; @__hip_cuid_d2812549f02e7eb9
	.section	.bss,"aw",@nobits
	.globl	__hip_cuid_d2812549f02e7eb9
__hip_cuid_d2812549f02e7eb9:
	.byte	0                               ; 0x0
	.size	__hip_cuid_d2812549f02e7eb9, 1

	.ident	"AMD clang version 19.0.0git (https://github.com/RadeonOpenCompute/llvm-project roc-6.4.0 25133 c7fe45cf4b819c5991fe208aaa96edf142730f1d)"
	.section	".note.GNU-stack","",@progbits
	.addrsig
	.addrsig_sym __hip_cuid_d2812549f02e7eb9
	.amdgpu_metadata
---
amdhsa.kernels:
  - .agpr_count:     0
    .args:
      - .actual_access:  read_only
        .address_space:  global
        .offset:         0
        .size:           8
        .value_kind:     global_buffer
      - .offset:         8
        .size:           8
        .value_kind:     by_value
      - .actual_access:  read_only
        .address_space:  global
        .offset:         16
        .size:           8
        .value_kind:     global_buffer
      - .actual_access:  read_only
        .address_space:  global
        .offset:         24
        .size:           8
        .value_kind:     global_buffer
      - .actual_access:  read_only
        .address_space:  global
        .offset:         32
        .size:           8
        .value_kind:     global_buffer
      - .offset:         40
        .size:           8
        .value_kind:     by_value
      - .actual_access:  read_only
        .address_space:  global
        .offset:         48
        .size:           8
        .value_kind:     global_buffer
      - .actual_access:  read_only
        .address_space:  global
        .offset:         56
        .size:           8
        .value_kind:     global_buffer
      - .offset:         64
        .size:           4
        .value_kind:     by_value
      - .actual_access:  read_only
        .address_space:  global
        .offset:         72
        .size:           8
        .value_kind:     global_buffer
      - .actual_access:  read_only
        .address_space:  global
        .offset:         80
        .size:           8
        .value_kind:     global_buffer
      - .actual_access:  read_only
        .address_space:  global
        .offset:         88
        .size:           8
        .value_kind:     global_buffer
      - .actual_access:  write_only
        .address_space:  global
        .offset:         96
        .size:           8
        .value_kind:     global_buffer
    .group_segment_fixed_size: 0
    .kernarg_segment_align: 8
    .kernarg_segment_size: 104
    .language:       OpenCL C
    .language_version:
      - 2
      - 0
    .max_flat_workgroup_size: 119
    .name:           fft_rtc_fwd_len289_factors_17_17_wgs_119_tpt_17_dp_op_CI_CI_sbrc_erc_z_xy_unaligned_dirReg
    .private_segment_fixed_size: 0
    .sgpr_count:     73
    .sgpr_spill_count: 0
    .symbol:         fft_rtc_fwd_len289_factors_17_17_wgs_119_tpt_17_dp_op_CI_CI_sbrc_erc_z_xy_unaligned_dirReg.kd
    .uniform_work_group_size: 1
    .uses_dynamic_stack: false
    .vgpr_count:     160
    .vgpr_spill_count: 0
    .wavefront_size: 64
amdhsa.target:   amdgcn-amd-amdhsa--gfx950
amdhsa.version:
  - 1
  - 2
...

	.end_amdgpu_metadata
